;; amdgpu-corpus repo=ROCm/rocFFT kind=compiled arch=gfx1030 opt=O3
	.text
	.amdgcn_target "amdgcn-amd-amdhsa--gfx1030"
	.amdhsa_code_object_version 6
	.protected	bluestein_single_fwd_len1210_dim1_half_op_CI_CI ; -- Begin function bluestein_single_fwd_len1210_dim1_half_op_CI_CI
	.globl	bluestein_single_fwd_len1210_dim1_half_op_CI_CI
	.p2align	8
	.type	bluestein_single_fwd_len1210_dim1_half_op_CI_CI,@function
bluestein_single_fwd_len1210_dim1_half_op_CI_CI: ; @bluestein_single_fwd_len1210_dim1_half_op_CI_CI
; %bb.0:
	s_load_dwordx4 s[8:11], s[4:5], 0x28
	v_mul_u32_u24_e32 v1, 0x254, v0
	v_mov_b32_e32 v25, 0
	s_mov_b32 s0, exec_lo
	v_lshrrev_b32_e32 v1, 16, v1
	v_add_nc_u32_e32 v24, s6, v1
	s_waitcnt lgkmcnt(0)
	v_cmpx_gt_u64_e64 s[8:9], v[24:25]
	s_cbranch_execz .LBB0_23
; %bb.1:
	s_load_dwordx4 s[0:3], s[4:5], 0x18
	v_mul_lo_u16 v1, 0x6e, v1
	v_sub_nc_u16 v7, v0, v1
	v_and_b32_e32 v52, 0xffff, v7
	v_lshlrev_b32_e32 v43, 2, v52
	s_waitcnt lgkmcnt(0)
	s_load_dwordx4 s[12:15], s[0:1], 0x0
	s_load_dwordx2 s[0:1], s[4:5], 0x0
	s_waitcnt lgkmcnt(0)
	s_clause 0x2
	global_load_dword v54, v43, s[0:1]
	global_load_dword v51, v43, s[0:1] offset:440
	global_load_dword v49, v43, s[0:1] offset:880
	v_mad_u64_u32 v[0:1], null, s14, v24, 0
	v_mad_u64_u32 v[2:3], null, s12, v52, 0
	v_add_co_u32 v33, s6, s0, v43
	s_mul_i32 s7, s13, 0x25d
	s_mul_hi_u32 s9, s12, 0x25d
	v_add_co_ci_u32_e64 v34, null, s1, 0, s6
	v_mad_u64_u32 v[4:5], null, s15, v24, v[1:2]
	s_mul_i32 s6, s12, 0x25d
	s_mul_i32 s14, s13, 0xfffffe11
	s_add_i32 s7, s9, s7
	s_mul_i32 s8, s12, 0xfffffe11
	v_mad_u64_u32 v[5:6], null, s13, v52, v[3:4]
	v_mov_b32_e32 v1, v4
	s_mul_hi_u32 s13, s12, 0xfffffe11
	s_sub_i32 s9, s13, s12
	s_lshl_b64 s[12:13], s[6:7], 2
	v_lshlrev_b64 v[0:1], 2, v[0:1]
	v_mov_b32_e32 v3, v5
	s_add_i32 s9, s9, s14
	s_lshl_b64 s[14:15], s[8:9], 2
	v_lshlrev_b64 v[2:3], 2, v[2:3]
	v_add_co_u32 v0, vcc_lo, s10, v0
	v_add_co_ci_u32_e32 v1, vcc_lo, s11, v1, vcc_lo
	v_add_co_u32 v0, vcc_lo, v0, v2
	v_add_co_ci_u32_e32 v1, vcc_lo, v1, v3, vcc_lo
	;; [unrolled: 2-line block ×4, first 2 shown]
	s_clause 0x1
	global_load_dword v6, v[0:1], off
	global_load_dword v8, v[2:3], off
	v_add_co_u32 v0, vcc_lo, v2, s14
	v_add_co_ci_u32_e32 v1, vcc_lo, s15, v3, vcc_lo
	s_clause 0x1
	global_load_dword v53, v[20:21], off offset:372
	global_load_dword v50, v[20:21], off offset:812
	v_add_co_u32 v2, vcc_lo, v0, s12
	v_add_co_ci_u32_e32 v3, vcc_lo, s13, v1, vcc_lo
	global_load_dword v9, v[0:1], off
	global_load_dword v48, v[20:21], off offset:1252
	global_load_dword v10, v[2:3], off
	v_add_co_u32 v0, vcc_lo, v2, s14
	v_add_co_ci_u32_e32 v1, vcc_lo, s15, v3, vcc_lo
	v_add_co_u32 v2, vcc_lo, v0, s12
	v_add_co_ci_u32_e32 v3, vcc_lo, s13, v1, vcc_lo
	global_load_dword v11, v[0:1], off
	v_add_co_u32 v0, vcc_lo, v2, s14
	v_add_co_ci_u32_e32 v1, vcc_lo, s15, v3, vcc_lo
	global_load_dword v12, v[2:3], off
	v_add_co_u32 v4, vcc_lo, v0, s12
	v_add_co_ci_u32_e32 v5, vcc_lo, s13, v1, vcc_lo
	v_add_co_u32 v2, vcc_lo, v4, s14
	v_add_co_ci_u32_e32 v3, vcc_lo, s15, v5, vcc_lo
	global_load_dword v13, v[0:1], off
	s_clause 0x1
	global_load_dword v47, v43, s[0:1] offset:1320
	global_load_dword v46, v[20:21], off offset:1692
	global_load_dword v4, v[4:5], off
	global_load_dword v5, v[2:3], off
	v_add_co_u32 v0, vcc_lo, v2, s12
	v_add_co_ci_u32_e32 v1, vcc_lo, s13, v3, vcc_lo
	v_add_co_u32 v22, vcc_lo, 0x1000, v33
	v_add_co_ci_u32_e32 v23, vcc_lo, 0, v34, vcc_lo
	global_load_dword v14, v[0:1], off
	s_clause 0x1
	global_load_dword v45, v43, s[0:1] offset:1760
	global_load_dword v44, v[22:23], off offset:84
	s_load_dwordx2 s[6:7], s[4:5], 0x38
	s_load_dwordx4 s[8:11], s[2:3], 0x0
	v_add_nc_u32_e32 v2, 0xa00, v43
	v_add_nc_u32_e32 v3, 0x200, v43
	v_cmp_gt_u16_e32 vcc_lo, 55, v7
	s_waitcnt vmcnt(16)
	v_lshrrev_b32_e32 v15, 16, v6
	v_mul_f16_sdwa v16, v54, v6 dst_sel:DWORD dst_unused:UNUSED_PAD src0_sel:WORD_1 src1_sel:DWORD
	s_waitcnt vmcnt(15)
	v_lshrrev_b32_e32 v18, 16, v8
	v_mul_f16_sdwa v17, v54, v15 dst_sel:DWORD dst_unused:UNUSED_PAD src0_sel:WORD_1 src1_sel:DWORD
	s_waitcnt vmcnt(14)
	v_mul_f16_sdwa v19, v53, v8 dst_sel:DWORD dst_unused:UNUSED_PAD src0_sel:WORD_1 src1_sel:DWORD
	v_fma_f16 v15, v54, v15, -v16
	v_fmac_f16_e32 v17, v54, v6
	v_mul_f16_sdwa v6, v53, v18 dst_sel:DWORD dst_unused:UNUSED_PAD src0_sel:WORD_1 src1_sel:DWORD
	s_waitcnt vmcnt(12)
	v_lshrrev_b32_e32 v16, 16, v9
	v_fma_f16 v18, v53, v18, -v19
	v_mul_f16_sdwa v19, v51, v9 dst_sel:DWORD dst_unused:UNUSED_PAD src0_sel:WORD_1 src1_sel:DWORD
	v_pack_b32_f16 v15, v17, v15
	v_fmac_f16_e32 v6, v53, v8
	v_mul_f16_sdwa v8, v51, v16 dst_sel:DWORD dst_unused:UNUSED_PAD src0_sel:WORD_1 src1_sel:DWORD
	s_waitcnt vmcnt(10)
	v_lshrrev_b32_e32 v17, 16, v10
	v_mul_f16_sdwa v25, v50, v10 dst_sel:DWORD dst_unused:UNUSED_PAD src0_sel:WORD_1 src1_sel:DWORD
	v_fma_f16 v16, v51, v16, -v19
	v_pack_b32_f16 v6, v6, v18
	v_fmac_f16_e32 v8, v51, v9
	v_mul_f16_sdwa v9, v50, v17 dst_sel:DWORD dst_unused:UNUSED_PAD src0_sel:WORD_1 src1_sel:DWORD
	s_waitcnt vmcnt(9)
	v_lshrrev_b32_e32 v18, 16, v11
	v_fma_f16 v17, v50, v17, -v25
	v_mul_f16_sdwa v19, v49, v11 dst_sel:DWORD dst_unused:UNUSED_PAD src0_sel:WORD_1 src1_sel:DWORD
	ds_write_b32 v43, v6 offset:2420
	v_pack_b32_f16 v6, v8, v16
	v_fmac_f16_e32 v9, v50, v10
	v_mul_f16_sdwa v8, v49, v18 dst_sel:DWORD dst_unused:UNUSED_PAD src0_sel:WORD_1 src1_sel:DWORD
	v_fma_f16 v10, v49, v18, -v19
	s_waitcnt vmcnt(8)
	v_lshrrev_b32_e32 v16, 16, v12
	v_mul_f16_sdwa v18, v48, v12 dst_sel:DWORD dst_unused:UNUSED_PAD src0_sel:WORD_1 src1_sel:DWORD
	ds_write2_b32 v43, v15, v6 offset1:110
	v_pack_b32_f16 v6, v9, v17
	v_fmac_f16_e32 v8, v49, v11
	s_waitcnt vmcnt(7)
	v_lshrrev_b32_e32 v9, 16, v13
	v_mul_f16_sdwa v11, v48, v16 dst_sel:DWORD dst_unused:UNUSED_PAD src0_sel:WORD_1 src1_sel:DWORD
	v_fma_f16 v15, v48, v16, -v18
	s_waitcnt vmcnt(6)
	v_mul_f16_sdwa v16, v47, v13 dst_sel:DWORD dst_unused:UNUSED_PAD src0_sel:WORD_1 src1_sel:DWORD
	v_pack_b32_f16 v10, v8, v10
	v_mul_f16_sdwa v8, v47, v9 dst_sel:DWORD dst_unused:UNUSED_PAD src0_sel:WORD_1 src1_sel:DWORD
	v_fmac_f16_e32 v11, v48, v12
	s_waitcnt vmcnt(4)
	v_lshrrev_b32_e32 v12, 16, v4
	v_fma_f16 v9, v47, v9, -v16
	v_mul_f16_sdwa v16, v46, v4 dst_sel:DWORD dst_unused:UNUSED_PAD src0_sel:WORD_1 src1_sel:DWORD
	v_fmac_f16_e32 v8, v47, v13
	s_waitcnt vmcnt(3)
	v_lshrrev_b32_e32 v13, 16, v5
	s_waitcnt vmcnt(2)
	v_lshrrev_b32_e32 v18, 16, v14
	v_mul_f16_sdwa v17, v46, v12 dst_sel:DWORD dst_unused:UNUSED_PAD src0_sel:WORD_1 src1_sel:DWORD
	v_fma_f16 v12, v46, v12, -v16
	s_waitcnt vmcnt(1)
	v_mul_f16_sdwa v16, v45, v5 dst_sel:DWORD dst_unused:UNUSED_PAD src0_sel:WORD_1 src1_sel:DWORD
	v_mul_f16_sdwa v19, v45, v13 dst_sel:DWORD dst_unused:UNUSED_PAD src0_sel:WORD_1 src1_sel:DWORD
	s_waitcnt vmcnt(0)
	v_mul_f16_sdwa v25, v44, v14 dst_sel:DWORD dst_unused:UNUSED_PAD src0_sel:WORD_1 src1_sel:DWORD
	v_mul_f16_sdwa v26, v44, v18 dst_sel:DWORD dst_unused:UNUSED_PAD src0_sel:WORD_1 src1_sel:DWORD
	v_fmac_f16_e32 v17, v46, v4
	v_fma_f16 v4, v45, v13, -v16
	v_fmac_f16_e32 v19, v45, v5
	v_fma_f16 v5, v44, v18, -v25
	v_fmac_f16_e32 v26, v44, v14
	v_pack_b32_f16 v11, v11, v15
	v_pack_b32_f16 v9, v8, v9
	v_add_nc_u32_e32 v8, 0xe00, v43
	v_pack_b32_f16 v4, v19, v4
	v_pack_b32_f16 v12, v17, v12
	;; [unrolled: 1-line block ×3, first 2 shown]
	ds_write2_b32 v2, v6, v11 offset0:75 offset1:185
	ds_write2_b32 v3, v10, v9 offset0:92 offset1:202
	ds_write_b32 v43, v4 offset:1760
	ds_write2_b32 v8, v12, v5 offset0:39 offset1:149
	s_and_saveexec_b32 s1, vcc_lo
	s_cbranch_execz .LBB0_3
; %bb.2:
	v_add_co_u32 v0, s0, v0, s14
	v_add_co_ci_u32_e64 v1, s0, s15, v1, s0
	v_add_co_u32 v4, s0, v0, s12
	v_add_co_ci_u32_e64 v5, s0, s13, v1, s0
	global_load_dword v0, v[0:1], off
	global_load_dword v1, v[4:5], off
	s_clause 0x1
	global_load_dword v4, v[20:21], off offset:152
	global_load_dword v5, v[22:23], off offset:524
	s_waitcnt vmcnt(3)
	v_lshrrev_b32_e32 v6, 16, v0
	s_waitcnt vmcnt(2)
	v_lshrrev_b32_e32 v7, 16, v1
	s_waitcnt vmcnt(1)
	v_mul_f16_sdwa v9, v4, v0 dst_sel:DWORD dst_unused:UNUSED_PAD src0_sel:WORD_1 src1_sel:DWORD
	s_waitcnt vmcnt(0)
	v_mul_f16_sdwa v12, v5, v1 dst_sel:DWORD dst_unused:UNUSED_PAD src0_sel:WORD_1 src1_sel:DWORD
	v_mul_f16_sdwa v10, v4, v6 dst_sel:DWORD dst_unused:UNUSED_PAD src0_sel:WORD_1 src1_sel:DWORD
	v_mul_f16_sdwa v11, v5, v7 dst_sel:DWORD dst_unused:UNUSED_PAD src0_sel:WORD_1 src1_sel:DWORD
	v_fma_f16 v6, v4, v6, -v9
	v_fmac_f16_e32 v10, v4, v0
	v_fmac_f16_e32 v11, v5, v1
	v_fma_f16 v0, v5, v7, -v12
	v_pack_b32_f16 v1, v10, v6
	v_pack_b32_f16 v0, v11, v0
	ds_write_b32 v43, v1 offset:2200
	ds_write_b32 v43, v0 offset:4620
.LBB0_3:
	s_or_b32 exec_lo, exec_lo, s1
	v_add_nc_u32_e32 v0, 0x600, v43
	s_waitcnt lgkmcnt(0)
	s_barrier
	buffer_gl0_inv
	ds_read2_b32 v[6:7], v43 offset1:110
	ds_read2_b32 v[0:1], v0 offset0:56 offset1:221
	ds_read2_b32 v[4:5], v2 offset0:75 offset1:185
	;; [unrolled: 1-line block ×4, first 2 shown]
                                        ; implicit-def: $vgpr10
                                        ; implicit-def: $vgpr11
	s_and_saveexec_b32 s0, vcc_lo
	s_cbranch_execz .LBB0_5
; %bb.4:
	ds_read_b32 v10, v43 offset:2200
	ds_read_b32 v11, v43 offset:4620
.LBB0_5:
	s_or_b32 exec_lo, exec_lo, s0
	s_load_dwordx2 s[2:3], s[4:5], 0x8
	v_add_co_u32 v26, null, 0x6e, v52
	v_add_co_u32 v25, null, 0xdc, v52
	;; [unrolled: 1-line block ×3, first 2 shown]
	s_waitcnt lgkmcnt(0)
	v_pk_add_f16 v12, v6, v1 neg_lo:[0,1] neg_hi:[0,1]
	v_pk_add_f16 v16, v2, v5 neg_lo:[0,1] neg_hi:[0,1]
	;; [unrolled: 1-line block ×4, first 2 shown]
	v_lshlrev_b16 v9, 1, v52
	v_mov_b32_e32 v11, 2
	v_pk_add_f16 v14, v7, v4 neg_lo:[0,1] neg_hi:[0,1]
	v_lshlrev_b32_e32 v60, 3, v52
	v_pk_add_f16 v8, v3, v8 neg_lo:[0,1] neg_hi:[0,1]
	v_pk_fma_f16 v4, v10, 2.0, v5 op_sel_hi:[1,0,1] neg_lo:[0,0,1] neg_hi:[0,0,1]
	v_lshlrev_b32_sdwa v56, v11, v9 dst_sel:DWORD dst_unused:UNUSED_PAD src0_sel:DWORD src1_sel:WORD_0
	v_pk_fma_f16 v11, v6, 2.0, v12 op_sel_hi:[1,0,1] neg_lo:[0,0,1] neg_hi:[0,0,1]
	v_lshlrev_b32_e32 v57, 3, v26
	v_lshlrev_b32_e32 v59, 3, v25
	;; [unrolled: 1-line block ×3, first 2 shown]
	v_pk_fma_f16 v13, v7, 2.0, v14 op_sel_hi:[1,0,1] neg_lo:[0,0,1] neg_hi:[0,0,1]
	v_pk_fma_f16 v15, v2, 2.0, v16 op_sel_hi:[1,0,1] neg_lo:[0,0,1] neg_hi:[0,0,1]
	;; [unrolled: 1-line block ×4, first 2 shown]
	v_add_nc_u32_e32 v2, 0x800, v60
	s_barrier
	buffer_gl0_inv
	ds_write_b64 v56, v[11:12]
	ds_write_b64 v57, v[13:14]
	;; [unrolled: 1-line block ×3, first 2 shown]
	ds_write2_b64 v2, v[7:8], v[0:1] offset0:74 offset1:184
	s_and_saveexec_b32 s0, vcc_lo
	s_cbranch_execz .LBB0_7
; %bb.6:
	ds_write_b64 v58, v[4:5]
.LBB0_7:
	s_or_b32 exec_lo, exec_lo, s0
	v_add_nc_u32_e32 v0, 0x200, v43
	v_add_nc_u32_e32 v1, 0x600, v43
	;; [unrolled: 1-line block ×4, first 2 shown]
	s_waitcnt lgkmcnt(0)
	s_barrier
	buffer_gl0_inv
	ds_read2_b32 v[6:7], v43 offset1:110
	ds_read2_b32 v[14:15], v0 offset0:114 offset1:224
	ds_read2_b32 v[12:13], v1 offset0:100 offset1:210
	;; [unrolled: 1-line block ×4, first 2 shown]
	v_cmp_gt_u16_e64 s0, 22, v52
                                        ; implicit-def: $vgpr16
                                        ; implicit-def: $vgpr28
                                        ; implicit-def: $vgpr29
                                        ; implicit-def: $vgpr27
                                        ; implicit-def: $vgpr30
	s_and_saveexec_b32 s1, s0
	s_cbranch_execz .LBB0_9
; %bb.8:
	v_add_nc_u32_e32 v0, 0xb00, v43
	ds_read2_b32 v[16:17], v0 offset1:242
	v_add_nc_u32_e32 v0, 0x340, v43
	ds_read_b32 v27, v43 offset:4752
	ds_read2_b32 v[4:5], v0 offset0:12 offset1:254
	s_waitcnt lgkmcnt(2)
	v_lshrrev_b32_e32 v28, 16, v16
	v_lshrrev_b32_e32 v29, 16, v17
	s_waitcnt lgkmcnt(1)
	v_lshrrev_b32_e32 v30, 16, v27
.LBB0_9:
	s_or_b32 exec_lo, exec_lo, s1
	v_and_b32_e32 v55, 1, v52
	v_lshrrev_b32_e32 v38, 1, v52
	v_lshrrev_b32_e32 v26, 1, v26
	s_waitcnt lgkmcnt(3)
	v_lshrrev_b32_e32 v36, 16, v14
	s_waitcnt lgkmcnt(2)
	v_lshrrev_b32_e32 v37, 16, v12
	v_lshlrev_b32_e32 v0, 4, v55
	s_waitcnt lgkmcnt(1)
	v_lshrrev_b32_e32 v35, 16, v10
	v_lshrrev_b32_e32 v32, 16, v15
	v_mul_u32_u24_e32 v38, 10, v38
	v_mul_u32_u24_e32 v39, 10, v26
	global_load_dwordx4 v[0:3], v0, s[2:3]
	s_waitcnt lgkmcnt(0)
	v_lshrrev_b32_e32 v31, 16, v8
	v_lshrrev_b32_e32 v41, 16, v13
	;; [unrolled: 1-line block ×6, first 2 shown]
	v_or_b32_e32 v25, v38, v55
	v_or_b32_e32 v38, v39, v55
	v_lshrrev_b32_e32 v19, 16, v7
	v_lshrrev_b32_e32 v18, 16, v6
	;; [unrolled: 1-line block ×3, first 2 shown]
	v_lshlrev_b32_e32 v63, 2, v25
	v_lshlrev_b32_e32 v62, 2, v38
	s_waitcnt vmcnt(0)
	s_barrier
	buffer_gl0_inv
	v_mul_f16_sdwa v66, v36, v0 dst_sel:DWORD dst_unused:UNUSED_PAD src0_sel:DWORD src1_sel:WORD_1
	v_mul_f16_sdwa v67, v14, v0 dst_sel:DWORD dst_unused:UNUSED_PAD src0_sel:DWORD src1_sel:WORD_1
	;; [unrolled: 1-line block ×24, first 2 shown]
	v_fmac_f16_e32 v67, v36, v0
	v_fmac_f16_e32 v69, v37, v1
	v_fma_f16 v14, v14, v0, -v66
	v_fma_f16 v12, v12, v1, -v68
	;; [unrolled: 1-line block ×3, first 2 shown]
	v_fmac_f16_e32 v71, v35, v2
	v_fma_f16 v15, v15, v0, -v74
	v_fmac_f16_e32 v75, v32, v0
	v_fma_f16 v35, v8, v3, -v72
	;; [unrolled: 2-line block ×9, first 2 shown]
	v_fmac_f16_e32 v25, v30, v3
	v_add_f16_e32 v16, v6, v14
	v_add_f16_e32 v32, v69, v71
	;; [unrolled: 1-line block ×5, first 2 shown]
	v_sub_f16_e32 v17, v14, v12
	v_sub_f16_e32 v27, v35, v36
	v_add_f16_e32 v30, v18, v67
	v_sub_f16_e32 v37, v67, v69
	v_add_f16_e32 v42, v67, v73
	v_sub_f16_e32 v64, v69, v67
	v_sub_f16_e32 v97, v67, v73
	v_add_f16_e32 v67, v14, v35
	v_add_f16_e32 v68, v13, v11
	v_sub_f16_e32 v70, v15, v13
	v_sub_f16_e32 v72, v31, v11
	;; [unrolled: 1-line block ×4, first 2 shown]
	v_add_f16_e32 v82, v77, v79
	v_add_f16_e32 v74, v15, v31
	;; [unrolled: 1-line block ×3, first 2 shown]
	v_sub_f16_e32 v28, v12, v14
	v_sub_f16_e32 v29, v36, v35
	;; [unrolled: 1-line block ×10, first 2 shown]
	v_add_f16_e32 v102, v10, v8
	v_add_f16_e32 v105, v9, v5
	;; [unrolled: 1-line block ×4, first 2 shown]
	v_fma_f16 v32, -0.5, v32, v18
	v_add_f16_e32 v12, v16, v12
	v_add_f16_e32 v16, v80, v77
	;; [unrolled: 1-line block ×3, first 2 shown]
	v_fma_f16 v77, -0.5, v96, v6
	v_sub_f16_e32 v98, v69, v71
	v_add_f16_e32 v17, v17, v27
	v_fmac_f16_e32 v18, -0.5, v42
	v_add_f16_e32 v27, v30, v69
	v_fma_f16 v6, -0.5, v67, v6
	v_sub_f16_e32 v87, v79, v81
	v_sub_f16_e32 v75, v75, v81
	;; [unrolled: 1-line block ×3, first 2 shown]
	v_add_f16_e32 v42, v70, v72
	v_fma_f16 v68, -0.5, v68, v7
	v_add_f16_e32 v72, v76, v78
	v_fma_f16 v76, -0.5, v82, v19
	v_sub_f16_e32 v88, v9, v10
	v_sub_f16_e32 v89, v5, v8
	v_fmac_f16_e32 v7, -0.5, v74
	v_fmac_f16_e32 v19, -0.5, v85
	v_sub_f16_e32 v84, v81, v79
	v_sub_f16_e32 v103, v40, v25
	;; [unrolled: 1-line block ×5, first 2 shown]
	v_add_f16_e32 v29, v28, v29
	v_add_f16_e32 v37, v37, v41
	;; [unrolled: 1-line block ×3, first 2 shown]
	v_fma_f16 v64, -0.5, v102, v4
	v_fma_f16 v28, -0.5, v105, v4
	;; [unrolled: 1-line block ×4, first 2 shown]
	v_add_f16_e32 v11, v13, v11
	v_add_f16_e32 v13, v16, v79
	v_fmamk_f16 v16, v97, 0x3b9c, v77
	v_fmamk_f16 v79, v14, 0xbb9c, v32
	v_add_f16_e32 v12, v12, v36
	v_add_f16_e32 v36, v27, v71
	v_fmamk_f16 v71, v98, 0xbb9c, v6
	v_fmac_f16_e32 v6, 0x3b9c, v98
	v_fmamk_f16 v80, v99, 0x3b9c, v18
	v_fmac_f16_e32 v18, 0xbb9c, v99
	v_fmac_f16_e32 v77, 0xbb9c, v97
	;; [unrolled: 1-line block ×3, first 2 shown]
	v_add_f16_e32 v78, v86, v87
	v_fmamk_f16 v85, v75, 0x3b9c, v68
	v_fmamk_f16 v87, v15, 0xbb9c, v76
	v_add_f16_e32 v82, v88, v89
	v_fmamk_f16 v86, v100, 0xbb9c, v7
	v_fmac_f16_e32 v7, 0x3b9c, v100
	v_fmamk_f16 v88, v101, 0x3b9c, v19
	v_fmac_f16_e32 v19, 0xbb9c, v101
	v_sub_f16_e32 v90, v10, v9
	v_sub_f16_e32 v91, v8, v5
	v_sub_f16_e32 v92, v40, v39
	v_sub_f16_e32 v93, v25, v38
	v_sub_f16_e32 v94, v39, v40
	v_sub_f16_e32 v95, v38, v25
	v_fmac_f16_e32 v68, 0xbb9c, v75
	v_fmac_f16_e32 v76, 0x3b9c, v15
	v_fmamk_f16 v69, v103, 0x3b9c, v64
	v_fmac_f16_e32 v64, 0xbb9c, v103
	v_fmamk_f16 v27, v104, 0xbb9c, v28
	;; [unrolled: 2-line block ×4, first 2 shown]
	v_fmac_f16_e32 v66, 0xbb9c, v109
	v_fmac_f16_e32 v16, 0x38b4, v98
	;; [unrolled: 1-line block ×9, first 2 shown]
	v_add_f16_e32 v74, v83, v84
	v_fmac_f16_e32 v85, 0x38b4, v100
	v_fmac_f16_e32 v87, 0xb8b4, v101
	v_fmac_f16_e32 v86, 0x38b4, v75
	v_fmac_f16_e32 v7, 0xb8b4, v75
	v_fmac_f16_e32 v88, 0xb8b4, v15
	v_fmac_f16_e32 v19, 0x38b4, v15
	v_add_f16_e32 v83, v90, v91
	v_add_f16_e32 v84, v92, v93
	;; [unrolled: 1-line block ×6, first 2 shown]
	v_fmac_f16_e32 v68, 0xb8b4, v100
	v_add_f16_e32 v13, v13, v81
	v_fmac_f16_e32 v76, 0x38b4, v101
	v_fmac_f16_e32 v69, 0x38b4, v104
	;; [unrolled: 1-line block ×33, first 2 shown]
	v_pack_b32_f16 v12, v12, v35
	v_pack_b32_f16 v11, v11, v13
	;; [unrolled: 1-line block ×10, first 2 shown]
	ds_write2_b32 v63, v12, v13 offset1:2
	ds_write2_b32 v63, v14, v6 offset0:4 offset1:6
	ds_write_b32 v63, v15 offset:32
	ds_write2_b32 v62, v11, v16 offset1:2
	ds_write2_b32 v62, v17, v7 offset0:4 offset1:6
	ds_write_b32 v62, v18 offset:32
	s_and_saveexec_b32 s1, s0
	s_cbranch_execz .LBB0_11
; %bb.10:
	v_add_f16_e32 v6, v26, v40
	v_add_f16_e32 v4, v4, v9
	v_mul_u32_u24_e32 v7, 10, v61
	v_perm_b32 v9, v66, v28, 0x5040100
	v_add_f16_e32 v6, v6, v39
	v_add_f16_e32 v4, v4, v10
	v_or_b32_e32 v7, v7, v55
	v_add_f16_e32 v6, v6, v38
	v_add_f16_e32 v4, v4, v8
	v_perm_b32 v8, v67, v27, 0x5040100
	v_lshlrev_b32_e32 v7, 2, v7
	v_add_f16_e32 v6, v6, v25
	v_add_f16_e32 v4, v4, v5
	v_perm_b32 v5, v70, v69, 0x5040100
	v_pack_b32_f16 v4, v4, v6
	v_perm_b32 v6, v65, v64, 0x5040100
	ds_write2_b32 v7, v8, v9 offset0:4 offset1:6
	ds_write2_b32 v7, v4, v5 offset1:2
	ds_write_b32 v7, v6 offset:32
.LBB0_11:
	s_or_b32 exec_lo, exec_lo, s1
	v_and_b32_e32 v4, 0xff, v52
	s_waitcnt lgkmcnt(0)
	s_barrier
	buffer_gl0_inv
	v_add_nc_u32_e32 v36, 0x600, v43
	v_mul_lo_u16 v4, 0xcd, v4
	v_add_nc_u32_e32 v35, 0x200, v43
	v_add_nc_u32_e32 v39, 0xa00, v43
	;; [unrolled: 1-line block ×3, first 2 shown]
	v_mov_b32_e32 v42, 0x6e
	v_lshrrev_b16 v32, 11, v4
	v_mad_u64_u32 v[40:41], null, v52, 40, s[2:3]
	v_mul_lo_u16 v4, v32, 10
	v_mul_u32_u24_sdwa v32, v32, v42 dst_sel:DWORD dst_unused:UNUSED_PAD src0_sel:WORD_0 src1_sel:DWORD
	v_sub_nc_u16 v4, v52, v4
	v_and_b32_e32 v31, 0xff, v4
	v_mad_u64_u32 v[12:13], null, v31, 40, s[2:3]
	v_add_lshl_u32 v68, v32, v31, 2
	s_clause 0x2
	global_load_dwordx4 v[8:11], v[12:13], off offset:32
	global_load_dwordx4 v[4:7], v[12:13], off offset:48
	global_load_dwordx2 v[25:26], v[12:13], off offset:64
	ds_read2_b32 v[12:13], v43 offset1:110
	ds_read_b32 v38, v43 offset:4400
	ds_read2_b32 v[29:30], v35 offset0:92 offset1:202
	ds_read2_b32 v[18:19], v36 offset0:56 offset1:166
	;; [unrolled: 1-line block ×4, first 2 shown]
	s_waitcnt vmcnt(0) lgkmcnt(0)
	s_barrier
	buffer_gl0_inv
	v_lshrrev_b32_e32 v74, 16, v18
	v_lshrrev_b32_e32 v42, 16, v13
	;; [unrolled: 1-line block ×10, first 2 shown]
	v_mul_f16_sdwa v31, v42, v8 dst_sel:DWORD dst_unused:UNUSED_PAD src0_sel:DWORD src1_sel:WORD_1
	v_mul_f16_sdwa v32, v13, v8 dst_sel:DWORD dst_unused:UNUSED_PAD src0_sel:DWORD src1_sel:WORD_1
	;; [unrolled: 1-line block ×7, first 2 shown]
	v_fma_f16 v13, v13, v8, -v31
	v_fmac_f16_e32 v32, v42, v8
	v_mul_f16_sdwa v82, v73, v10 dst_sel:DWORD dst_unused:UNUSED_PAD src0_sel:DWORD src1_sel:WORD_1
	v_mul_f16_sdwa v83, v30, v10 dst_sel:DWORD dst_unused:UNUSED_PAD src0_sel:DWORD src1_sel:WORD_1
	;; [unrolled: 1-line block ×13, first 2 shown]
	v_fma_f16 v29, v29, v9, -v80
	v_fmac_f16_e32 v81, v72, v9
	v_fma_f16 v15, v15, v25, -v94
	v_fma_f16 v31, v38, v26, -v96
	v_fmac_f16_e32 v97, v71, v26
	v_add_f16_e32 v38, v12, v13
	v_add_f16_sdwa v42, v12, v32 dst_sel:DWORD dst_unused:UNUSED_PAD src0_sel:WORD_1 src1_sel:DWORD
	v_fma_f16 v30, v30, v10, -v82
	v_fmac_f16_e32 v83, v73, v10
	v_fma_f16 v18, v18, v11, -v84
	v_fmac_f16_e32 v85, v74, v11
	;; [unrolled: 2-line block ×6, first 2 shown]
	v_fmac_f16_e32 v95, v79, v25
	v_add_f16_e32 v71, v13, v31
	v_add_f16_e32 v72, v32, v97
	v_sub_f16_e32 v13, v13, v31
	v_sub_f16_e32 v32, v32, v97
	v_add_f16_e32 v73, v29, v15
	v_sub_f16_e32 v75, v29, v15
	v_add_f16_e32 v29, v38, v29
	v_add_f16_e32 v38, v42, v81
	;; [unrolled: 1-line block ×3, first 2 shown]
	v_sub_f16_e32 v76, v81, v95
	v_add_f16_e32 v77, v30, v14
	v_sub_f16_e32 v79, v30, v14
	v_sub_f16_e32 v80, v83, v93
	v_sub_f16_e32 v82, v85, v91
	v_sub_f16_e32 v86, v18, v17
	v_sub_f16_e32 v90, v87, v89
	v_sub_f16_e32 v94, v19, v16
	v_mul_f16_e32 v42, 0xb853, v32
	v_mul_f16_e32 v81, 0xb853, v13
	;; [unrolled: 1-line block ×10, first 2 shown]
	v_add_f16_e32 v29, v29, v30
	v_add_f16_e32 v30, v38, v83
	;; [unrolled: 1-line block ×7, first 2 shown]
	v_mul_f16_e32 v104, 0xbb47, v76
	v_mul_f16_e32 v105, 0xbb47, v75
	v_mul_f16_e32 v106, 0xba0c, v76
	v_mul_f16_e32 v107, 0xba0c, v75
	v_mul_f16_e32 v108, 0x3482, v76
	v_mul_f16_e32 v109, 0x3482, v75
	v_mul_f16_e32 v110, 0x3beb, v76
	v_mul_f16_e32 v111, 0x3beb, v75
	v_mul_f16_e32 v76, 0x3853, v76
	v_mul_f16_e32 v75, 0x3853, v75
	v_mul_f16_e32 v112, 0xbbeb, v80
	v_mul_f16_e32 v113, 0xbbeb, v79
	v_mul_f16_e32 v114, 0x3482, v80
	v_mul_f16_e32 v115, 0x3482, v79
	v_mul_f16_e32 v116, 0x3b47, v80
	v_mul_f16_e32 v117, 0xb853, v80
	v_mul_f16_e32 v80, 0xba0c, v80
	v_mul_f16_e32 v118, 0x3b47, v79
	v_mul_f16_e32 v119, 0xb853, v79
	v_mul_f16_e32 v79, 0xba0c, v79
	v_mul_f16_e32 v120, 0xba0c, v82
	v_mul_f16_e32 v121, 0x3beb, v82
	v_mul_f16_e32 v122, 0xb853, v82
	v_mul_f16_e32 v123, 0xb482, v82
	v_mul_f16_e32 v82, 0x3b47, v82
	v_mul_f16_e32 v124, 0xba0c, v86
	v_mul_f16_e32 v125, 0x3beb, v86
	v_mul_f16_e32 v126, 0xb853, v86
	v_mul_f16_e32 v127, 0xb482, v86
	v_mul_f16_e32 v86, 0x3b47, v86
	v_mul_f16_e32 v128, 0xb482, v90
	v_mul_f16_e32 v129, 0x3853, v90
	v_mul_f16_e32 v130, 0xba0c, v90
	v_mul_f16_e32 v131, 0x3b47, v90
	v_mul_f16_e32 v90, 0xbbeb, v90
	v_mul_f16_e32 v132, 0xb482, v94
	v_mul_f16_e32 v133, 0x3853, v94
	v_mul_f16_e32 v134, 0xba0c, v94
	v_mul_f16_e32 v135, 0x3b47, v94
	v_mul_f16_e32 v94, 0xbbeb, v94
	v_fma_f16 v38, v71, 0x3abb, -v42
	v_fmamk_f16 v83, v72, 0x3abb, v81
	v_fmac_f16_e32 v42, 0x3abb, v71
	v_fma_f16 v81, v72, 0x3abb, -v81
	v_fma_f16 v136, v71, 0x36a6, -v98
	v_fmamk_f16 v137, v72, 0x36a6, v99
	v_fmac_f16_e32 v98, 0x36a6, v71
	v_fma_f16 v99, v72, 0x36a6, -v99
	v_fma_f16 v138, v71, 0xb08e, -v100
	v_fmamk_f16 v139, v72, 0xb08e, v101
	v_fmac_f16_e32 v100, 0xb08e, v71
	v_fma_f16 v101, v72, 0xb08e, -v101
	v_fma_f16 v140, v71, 0xb93d, -v102
	v_fmamk_f16 v141, v72, 0xb93d, v103
	v_fmac_f16_e32 v102, 0xb93d, v71
	v_fma_f16 v103, v72, 0xb93d, -v103
	v_fma_f16 v142, v71, 0xbbad, -v32
	v_fmamk_f16 v143, v72, 0xbbad, v13
	v_fmac_f16_e32 v32, 0xbbad, v71
	v_fma_f16 v13, v72, 0xbbad, -v13
	v_add_f16_e32 v18, v29, v18
	v_add_f16_e32 v29, v30, v85
	v_fma_f16 v71, v73, 0x36a6, -v104
	v_fmamk_f16 v72, v74, 0x36a6, v105
	v_fmac_f16_e32 v104, 0x36a6, v73
	v_fma_f16 v105, v74, 0x36a6, -v105
	v_fma_f16 v144, v73, 0xb93d, -v106
	v_fmamk_f16 v145, v74, 0xb93d, v107
	v_fmac_f16_e32 v106, 0xb93d, v73
	v_fma_f16 v107, v74, 0xb93d, -v107
	;; [unrolled: 4-line block ×5, first 2 shown]
	v_fma_f16 v74, v77, 0xb08e, -v112
	v_fmac_f16_e32 v112, 0xb08e, v77
	v_fma_f16 v75, v77, 0xbbad, -v114
	v_fmac_f16_e32 v114, 0xbbad, v77
	v_fma_f16 v152, v77, 0x36a6, -v116
	v_fmac_f16_e32 v116, 0x36a6, v77
	v_fma_f16 v153, v77, 0x3abb, -v117
	v_fmac_f16_e32 v117, 0x3abb, v77
	v_fma_f16 v154, v77, 0xb93d, -v80
	v_fmac_f16_e32 v80, 0xb93d, v77
	v_fmamk_f16 v77, v78, 0xb08e, v113
	v_fma_f16 v113, v78, 0xb08e, -v113
	v_fmamk_f16 v155, v78, 0xbbad, v115
	v_fma_f16 v115, v78, 0xbbad, -v115
	v_fmamk_f16 v156, v78, 0x36a6, v118
	v_fma_f16 v118, v78, 0x36a6, -v118
	v_fmamk_f16 v157, v78, 0x3abb, v119
	v_fma_f16 v119, v78, 0x3abb, -v119
	v_fmamk_f16 v158, v78, 0xb93d, v79
	v_fma_f16 v78, v78, 0xb93d, -v79
	v_fma_f16 v79, v84, 0xb93d, -v120
	v_fmac_f16_e32 v120, 0xb93d, v84
	v_fma_f16 v159, v84, 0xb08e, -v121
	v_fmac_f16_e32 v121, 0xb08e, v84
	v_fma_f16 v160, v84, 0x3abb, -v122
	v_fmac_f16_e32 v122, 0x3abb, v84
	v_fma_f16 v161, v84, 0xbbad, -v123
	v_fmac_f16_e32 v123, 0xbbad, v84
	v_fma_f16 v162, v84, 0x36a6, -v82
	v_fmac_f16_e32 v82, 0x36a6, v84
	v_fmamk_f16 v84, v88, 0xb93d, v124
	v_fma_f16 v124, v88, 0xb93d, -v124
	v_fmamk_f16 v163, v88, 0xb08e, v125
	v_fma_f16 v125, v88, 0xb08e, -v125
	v_fmamk_f16 v164, v88, 0x3abb, v126
	v_fma_f16 v126, v88, 0x3abb, -v126
	v_fmamk_f16 v165, v88, 0xbbad, v127
	v_fma_f16 v127, v88, 0xbbad, -v127
	v_fmamk_f16 v166, v88, 0x36a6, v86
	v_fma_f16 v86, v88, 0x36a6, -v86
	;; [unrolled: 20-line block ×3, first 2 shown]
	v_add_f16_e32 v38, v12, v38
	v_add_f16_sdwa v83, v12, v83 dst_sel:DWORD dst_unused:UNUSED_PAD src0_sel:WORD_1 src1_sel:DWORD
	v_add_f16_e32 v42, v12, v42
	v_add_f16_sdwa v81, v12, v81 dst_sel:DWORD dst_unused:UNUSED_PAD src0_sel:WORD_1 src1_sel:DWORD
	;; [unrolled: 2-line block ×10, first 2 shown]
	v_add_f16_e32 v13, v18, v19
	v_add_f16_e32 v18, v29, v87
	;; [unrolled: 1-line block ×92, first 2 shown]
	v_pack_b32_f16 v15, v16, v17
	v_pack_b32_f16 v16, v29, v38
	;; [unrolled: 1-line block ×11, first 2 shown]
	ds_write2_b32 v68, v16, v17 offset0:20 offset1:30
	ds_write2_b32 v68, v29, v30 offset0:40 offset1:50
	;; [unrolled: 1-line block ×4, first 2 shown]
	ds_write_b32 v68, v18 offset:400
	ds_write2_b32 v68, v13, v15 offset1:10
	s_waitcnt lgkmcnt(0)
	s_barrier
	buffer_gl0_inv
	s_clause 0x2
	global_load_dwordx4 v[16:19], v[40:41], off offset:432
	global_load_dwordx4 v[12:15], v[40:41], off offset:448
	global_load_dwordx2 v[29:30], v[40:41], off offset:464
	ds_read2_b32 v[31:32], v43 offset1:110
	ds_read2_b32 v[77:78], v35 offset0:92 offset1:202
	ds_read2_b32 v[82:83], v36 offset0:56 offset1:166
	;; [unrolled: 1-line block ×4, first 2 shown]
	ds_read_b32 v88, v43 offset:4400
	s_waitcnt lgkmcnt(5)
	v_lshrrev_b32_e32 v42, 16, v32
	s_waitcnt lgkmcnt(4)
	v_lshrrev_b32_e32 v72, 16, v77
	v_lshrrev_b32_e32 v74, 16, v78
	s_waitcnt lgkmcnt(2)
	v_lshrrev_b32_e32 v91, 16, v84
	;; [unrolled: 3-line block ×3, first 2 shown]
	s_waitcnt lgkmcnt(0)
	v_lshrrev_b32_e32 v95, 16, v88
	v_lshrrev_b32_e32 v89, 16, v82
	;; [unrolled: 1-line block ×4, first 2 shown]
	s_waitcnt vmcnt(2)
	v_mul_f16_sdwa v79, v42, v16 dst_sel:DWORD dst_unused:UNUSED_PAD src0_sel:DWORD src1_sel:WORD_1
	v_mul_f16_sdwa v96, v32, v16 dst_sel:DWORD dst_unused:UNUSED_PAD src0_sel:DWORD src1_sel:WORD_1
	;; [unrolled: 1-line block ×5, first 2 shown]
	s_waitcnt vmcnt(1)
	v_mul_f16_sdwa v101, v91, v13 dst_sel:DWORD dst_unused:UNUSED_PAD src0_sel:DWORD src1_sel:WORD_1
	v_mul_f16_sdwa v102, v92, v14 dst_sel:DWORD dst_unused:UNUSED_PAD src0_sel:DWORD src1_sel:WORD_1
	v_fma_f16 v106, v32, v16, -v79
	v_fmac_f16_e32 v96, v42, v16
	v_mul_f16_sdwa v98, v74, v18 dst_sel:DWORD dst_unused:UNUSED_PAD src0_sel:DWORD src1_sel:WORD_1
	v_mul_f16_sdwa v73, v84, v13 dst_sel:DWORD dst_unused:UNUSED_PAD src0_sel:DWORD src1_sel:WORD_1
	;; [unrolled: 1-line block ×5, first 2 shown]
	s_waitcnt vmcnt(0)
	v_mul_f16_sdwa v105, v95, v30 dst_sel:DWORD dst_unused:UNUSED_PAD src0_sel:DWORD src1_sel:WORD_1
	v_mul_f16_sdwa v38, v88, v30 dst_sel:DWORD dst_unused:UNUSED_PAD src0_sel:DWORD src1_sel:WORD_1
	v_fma_f16 v107, v77, v17, -v81
	v_fmac_f16_e32 v97, v72, v17
	v_fmac_f16_e32 v80, v74, v18
	v_fma_f16 v77, v84, v13, -v101
	v_fma_f16 v74, v85, v14, -v102
	v_add_f16_e32 v84, v31, v106
	v_add_f16_sdwa v85, v31, v96 dst_sel:DWORD dst_unused:UNUSED_PAD src0_sel:WORD_1 src1_sel:DWORD
	v_mul_f16_sdwa v99, v89, v19 dst_sel:DWORD dst_unused:UNUSED_PAD src0_sel:DWORD src1_sel:WORD_1
	v_mul_f16_sdwa v76, v82, v19 dst_sel:DWORD dst_unused:UNUSED_PAD src0_sel:DWORD src1_sel:WORD_1
	v_mul_f16_sdwa v100, v90, v12 dst_sel:DWORD dst_unused:UNUSED_PAD src0_sel:DWORD src1_sel:WORD_1
	v_mul_f16_sdwa v75, v83, v12 dst_sel:DWORD dst_unused:UNUSED_PAD src0_sel:DWORD src1_sel:WORD_1
	v_mul_f16_sdwa v104, v94, v29 dst_sel:DWORD dst_unused:UNUSED_PAD src0_sel:DWORD src1_sel:WORD_1
	v_mul_f16_sdwa v40, v87, v29 dst_sel:DWORD dst_unused:UNUSED_PAD src0_sel:DWORD src1_sel:WORD_1
	v_fma_f16 v81, v78, v18, -v98
	v_fma_f16 v72, v86, v15, -v103
	v_fmac_f16_e32 v41, v93, v15
	v_fma_f16 v32, v88, v30, -v105
	v_fmac_f16_e32 v38, v95, v30
	v_add_f16_e32 v84, v84, v107
	v_add_f16_e32 v85, v85, v97
	v_fma_f16 v79, v82, v19, -v99
	v_fmac_f16_e32 v76, v89, v19
	v_fma_f16 v78, v83, v12, -v100
	v_fmac_f16_e32 v75, v90, v12
	v_fmac_f16_e32 v73, v91, v13
	;; [unrolled: 1-line block ×3, first 2 shown]
	v_fma_f16 v42, v87, v29, -v104
	v_fmac_f16_e32 v40, v94, v29
	v_sub_f16_e32 v86, v106, v32
	v_sub_f16_e32 v87, v96, v38
	;; [unrolled: 1-line block ×3, first 2 shown]
	v_add_f16_e32 v93, v81, v72
	v_sub_f16_e32 v94, v81, v72
	v_add_f16_e32 v95, v80, v41
	v_add_f16_e32 v81, v84, v81
	;; [unrolled: 1-line block ×6, first 2 shown]
	v_sub_f16_e32 v90, v107, v42
	v_sub_f16_e32 v91, v97, v40
	v_sub_f16_e32 v96, v76, v71
	v_add_f16_e32 v98, v79, v74
	v_sub_f16_e32 v99, v79, v74
	v_add_f16_e32 v100, v76, v71
	v_sub_f16_e32 v101, v75, v73
	v_sub_f16_e32 v103, v78, v77
	v_mul_f16_e32 v97, 0xb853, v87
	v_mul_f16_e32 v105, 0xb853, v86
	v_add_f16_e32 v79, v81, v79
	v_add_f16_e32 v76, v80, v76
	;; [unrolled: 1-line block ×3, first 2 shown]
	v_mul_f16_e32 v106, 0xbb47, v87
	v_mul_f16_e32 v107, 0xbb47, v86
	;; [unrolled: 1-line block ×8, first 2 shown]
	v_add_f16_e32 v102, v78, v77
	v_add_f16_e32 v104, v75, v73
	v_mul_f16_e32 v112, 0xbb47, v91
	v_mul_f16_e32 v113, 0xbb47, v90
	;; [unrolled: 1-line block ×40, first 2 shown]
	v_fma_f16 v144, v82, 0x3abb, -v97
	v_fmamk_f16 v145, v83, 0x3abb, v105
	v_add_f16_e32 v78, v79, v78
	v_add_f16_e32 v75, v76, v75
	v_fmac_f16_e32 v97, 0x3abb, v82
	v_fma_f16 v105, v83, 0x3abb, -v105
	v_fma_f16 v146, v82, 0x36a6, -v106
	v_fmamk_f16 v147, v83, 0x36a6, v107
	v_fmac_f16_e32 v106, 0x36a6, v82
	v_fma_f16 v107, v83, 0x36a6, -v107
	v_fma_f16 v148, v82, 0xb08e, -v108
	v_fmamk_f16 v149, v83, 0xb08e, v109
	v_fmac_f16_e32 v108, 0xb08e, v82
	v_fma_f16 v109, v83, 0xb08e, -v109
	v_fma_f16 v150, v82, 0xb93d, -v110
	v_fmamk_f16 v151, v83, 0xb93d, v111
	v_fmac_f16_e32 v110, 0xb93d, v82
	v_fma_f16 v152, v82, 0xbbad, -v87
	v_fmamk_f16 v153, v83, 0xbbad, v86
	v_fma_f16 v111, v83, 0xb93d, -v111
	v_fmac_f16_e32 v87, 0xbbad, v82
	v_fma_f16 v82, v83, 0xbbad, -v86
	v_fma_f16 v83, v88, 0x36a6, -v112
	v_fmamk_f16 v86, v89, 0x36a6, v113
	v_fmac_f16_e32 v112, 0x36a6, v88
	v_fma_f16 v113, v89, 0x36a6, -v113
	v_fma_f16 v154, v88, 0xb93d, -v114
	v_fmamk_f16 v155, v89, 0xb93d, v115
	;; [unrolled: 4-line block ×4, first 2 shown]
	v_fmac_f16_e32 v118, 0xb08e, v88
	v_fma_f16 v119, v89, 0xb08e, -v119
	v_fma_f16 v160, v88, 0x3abb, -v91
	v_fmac_f16_e32 v91, 0x3abb, v88
	v_fmamk_f16 v88, v89, 0x3abb, v90
	v_fma_f16 v89, v89, 0x3abb, -v90
	v_fma_f16 v90, v93, 0xb08e, -v120
	v_fmac_f16_e32 v120, 0xb08e, v93
	v_fma_f16 v161, v93, 0xbbad, -v121
	v_fmac_f16_e32 v121, 0xbbad, v93
	v_fma_f16 v162, v93, 0x36a6, -v122
	v_fmac_f16_e32 v122, 0x36a6, v93
	v_fma_f16 v163, v93, 0x3abb, -v123
	v_fmac_f16_e32 v123, 0x3abb, v93
	v_fma_f16 v164, v93, 0xb93d, -v92
	v_fmac_f16_e32 v92, 0xb93d, v93
	v_fmamk_f16 v84, v95, 0xb08e, v124
	v_fma_f16 v85, v95, 0xb08e, -v124
	v_fmamk_f16 v93, v95, 0xbbad, v125
	v_fma_f16 v124, v95, 0xbbad, -v125
	v_fmamk_f16 v125, v95, 0x36a6, v126
	v_fma_f16 v126, v95, 0x36a6, -v126
	v_fmamk_f16 v165, v95, 0x3abb, v127
	v_fma_f16 v127, v95, 0x3abb, -v127
	v_fmamk_f16 v166, v95, 0xb93d, v94
	v_fma_f16 v94, v95, 0xb93d, -v94
	v_fma_f16 v95, v98, 0xb93d, -v128
	v_fmac_f16_e32 v128, 0xb93d, v98
	v_fma_f16 v167, v98, 0xb08e, -v129
	v_fmac_f16_e32 v129, 0xb08e, v98
	v_fma_f16 v168, v98, 0x3abb, -v130
	v_fmac_f16_e32 v130, 0x3abb, v98
	v_fma_f16 v169, v98, 0xbbad, -v131
	v_fmac_f16_e32 v131, 0xbbad, v98
	v_fma_f16 v170, v98, 0x36a6, -v96
	v_fmac_f16_e32 v96, 0x36a6, v98
	v_fmamk_f16 v98, v100, 0xb93d, v132
	v_fma_f16 v132, v100, 0xb93d, -v132
	v_fmamk_f16 v171, v100, 0xb08e, v133
	v_fma_f16 v133, v100, 0xb08e, -v133
	v_fmamk_f16 v172, v100, 0x3abb, v134
	v_fma_f16 v134, v100, 0x3abb, -v134
	v_fmamk_f16 v173, v100, 0xbbad, v135
	v_fma_f16 v135, v100, 0xbbad, -v135
	;; [unrolled: 20-line block ×3, first 2 shown]
	v_fmamk_f16 v182, v104, 0xb08e, v103
	v_fma_f16 v103, v104, 0xb08e, -v103
	v_add_f16_e32 v104, v31, v144
	v_add_f16_sdwa v144, v31, v145 dst_sel:DWORD dst_unused:UNUSED_PAD src0_sel:WORD_1 src1_sel:DWORD
	v_add_f16_e32 v77, v78, v77
	v_add_f16_e32 v73, v75, v73
	;; [unrolled: 1-line block ×3, first 2 shown]
	v_add_f16_sdwa v105, v31, v105 dst_sel:DWORD dst_unused:UNUSED_PAD src0_sel:WORD_1 src1_sel:DWORD
	v_add_f16_e32 v145, v31, v146
	v_add_f16_sdwa v146, v31, v147 dst_sel:DWORD dst_unused:UNUSED_PAD src0_sel:WORD_1 src1_sel:DWORD
	v_add_f16_e32 v106, v31, v106
	;; [unrolled: 2-line block ×6, first 2 shown]
	v_add_f16_e32 v151, v31, v152
	v_add_f16_sdwa v80, v31, v153 dst_sel:DWORD dst_unused:UNUSED_PAD src0_sel:WORD_1 src1_sel:DWORD
	v_add_f16_sdwa v111, v31, v111 dst_sel:DWORD dst_unused:UNUSED_PAD src0_sel:WORD_1 src1_sel:DWORD
	v_add_f16_e32 v81, v31, v87
	v_add_f16_sdwa v31, v31, v82 dst_sel:DWORD dst_unused:UNUSED_PAD src0_sel:WORD_1 src1_sel:DWORD
	v_add_f16_e32 v76, v83, v104
	v_add_f16_e32 v79, v86, v144
	;; [unrolled: 1-line block ×88, first 2 shown]
	v_pack_b32_f16 v41, v73, v75
	v_pack_b32_f16 v32, v32, v38
	;; [unrolled: 1-line block ×11, first 2 shown]
	ds_write2_b32 v43, v32, v41 offset1:110
	ds_write2_b32 v35, v73, v40 offset0:92 offset1:202
	ds_write2_b32 v36, v42, v74 offset0:56 offset1:166
	;; [unrolled: 1-line block ×4, first 2 shown]
	ds_write_b32 v43, v77 offset:4400
	s_waitcnt lgkmcnt(0)
	s_barrier
	buffer_gl0_inv
	global_load_dword v38, v[22:23], off offset:744
	v_add_co_u32 v31, s1, 0x12e8, v33
	v_add_co_ci_u32_e64 v32, s1, 0, v34, s1
	v_add_co_u32 v40, s1, 0x1800, v33
	v_add_co_ci_u32_e64 v41, s1, 0, v34, s1
	global_load_dword v42, v[31:32], off offset:440
	v_add_co_u32 v33, s1, 0x2000, v33
	s_clause 0x2
	global_load_dword v81, v[40:41], off offset:1116
	global_load_dword v82, v[40:41], off offset:1556
	;; [unrolled: 1-line block ×3, first 2 shown]
	v_add_co_ci_u32_e64 v34, s1, 0, v34, s1
	s_clause 0x4
	global_load_dword v40, v[40:41], off offset:1996
	global_load_dword v84, v[31:32], off offset:1320
	;; [unrolled: 1-line block ×5, first 2 shown]
	ds_read2_b32 v[33:34], v43 offset1:110
	s_waitcnt lgkmcnt(0)
	v_lshrrev_b32_e32 v41, 16, v33
	s_waitcnt vmcnt(9)
	v_mul_f16_sdwa v73, v41, v38 dst_sel:DWORD dst_unused:UNUSED_PAD src0_sel:DWORD src1_sel:WORD_1
	v_mul_f16_sdwa v74, v33, v38 dst_sel:DWORD dst_unused:UNUSED_PAD src0_sel:DWORD src1_sel:WORD_1
	v_fma_f16 v33, v33, v38, -v73
	v_fmac_f16_e32 v74, v41, v38
	v_add_nc_u32_e32 v41, 0xe00, v43
	s_waitcnt vmcnt(8)
	v_mul_f16_sdwa v88, v34, v42 dst_sel:DWORD dst_unused:UNUSED_PAD src0_sel:DWORD src1_sel:WORD_1
	v_pack_b32_f16 v33, v33, v74
	ds_write_b32 v43, v33
	ds_read2_b32 v[73:74], v36 offset0:56 offset1:221
	ds_read2_b32 v[75:76], v39 offset0:75 offset1:185
	;; [unrolled: 1-line block ×4, first 2 shown]
	v_lshrrev_b32_e32 v33, 16, v34
	v_mul_f16_sdwa v38, v33, v42 dst_sel:DWORD dst_unused:UNUSED_PAD src0_sel:DWORD src1_sel:WORD_1
	v_fmac_f16_e32 v88, v33, v42
	v_add_nc_u32_e32 v33, 0x800, v43
	v_fma_f16 v34, v34, v42, -v38
	v_add_nc_u32_e32 v38, 0x400, v43
	v_pack_b32_f16 v34, v34, v88
	s_waitcnt lgkmcnt(3)
	v_lshrrev_b32_e32 v42, 16, v74
	s_waitcnt vmcnt(7)
	v_mul_f16_sdwa v88, v74, v81 dst_sel:DWORD dst_unused:UNUSED_PAD src0_sel:DWORD src1_sel:WORD_1
	s_waitcnt lgkmcnt(2)
	v_lshrrev_b32_e32 v89, 16, v75
	s_waitcnt vmcnt(6)
	v_mul_f16_sdwa v90, v75, v82 dst_sel:DWORD dst_unused:UNUSED_PAD src0_sel:DWORD src1_sel:WORD_1
	;; [unrolled: 4-line block ×3, first 2 shown]
	v_lshrrev_b32_e32 v93, 16, v76
	s_waitcnt vmcnt(4)
	v_mul_f16_sdwa v94, v76, v40 dst_sel:DWORD dst_unused:UNUSED_PAD src0_sel:DWORD src1_sel:WORD_1
	v_lshrrev_b32_e32 v95, 16, v78
	s_waitcnt vmcnt(3)
	v_mul_f16_sdwa v96, v78, v84 dst_sel:DWORD dst_unused:UNUSED_PAD src0_sel:DWORD src1_sel:WORD_1
	s_waitcnt lgkmcnt(0)
	v_lshrrev_b32_e32 v97, 16, v79
	s_waitcnt vmcnt(2)
	v_mul_f16_sdwa v98, v79, v85 dst_sel:DWORD dst_unused:UNUSED_PAD src0_sel:DWORD src1_sel:WORD_1
	v_lshrrev_b32_e32 v99, 16, v73
	s_waitcnt vmcnt(1)
	v_mul_f16_sdwa v100, v73, v86 dst_sel:DWORD dst_unused:UNUSED_PAD src0_sel:DWORD src1_sel:WORD_1
	v_lshrrev_b32_e32 v101, 16, v80
	v_mul_f16_sdwa v103, v42, v81 dst_sel:DWORD dst_unused:UNUSED_PAD src0_sel:DWORD src1_sel:WORD_1
	v_fmac_f16_e32 v88, v42, v81
	v_mul_f16_sdwa v42, v89, v82 dst_sel:DWORD dst_unused:UNUSED_PAD src0_sel:DWORD src1_sel:WORD_1
	v_fmac_f16_e32 v90, v89, v82
	;; [unrolled: 2-line block ×6, first 2 shown]
	v_mul_f16_sdwa v97, v99, v86 dst_sel:DWORD dst_unused:UNUSED_PAD src0_sel:DWORD src1_sel:WORD_1
	s_waitcnt vmcnt(0)
	v_mul_f16_sdwa v102, v80, v87 dst_sel:DWORD dst_unused:UNUSED_PAD src0_sel:DWORD src1_sel:WORD_1
	v_fmac_f16_e32 v100, v99, v86
	v_mul_f16_sdwa v99, v101, v87 dst_sel:DWORD dst_unused:UNUSED_PAD src0_sel:DWORD src1_sel:WORD_1
	v_fma_f16 v74, v74, v81, -v103
	v_fma_f16 v42, v75, v82, -v42
	;; [unrolled: 1-line block ×7, first 2 shown]
	v_fmac_f16_e32 v102, v101, v87
	v_fma_f16 v78, v80, v87, -v99
	v_pack_b32_f16 v74, v74, v88
	v_pack_b32_f16 v42, v42, v90
	;; [unrolled: 1-line block ×8, first 2 shown]
	ds_write2_b32 v33, v74, v42 offset0:93 offset1:203
	ds_write2_b32 v43, v34, v75 offset0:110 offset1:220
	;; [unrolled: 1-line block ×4, first 2 shown]
	ds_write_b32 v43, v78 offset:4180
	s_and_saveexec_b32 s2, vcc_lo
	s_cbranch_execz .LBB0_13
; %bb.12:
	v_add_co_u32 v33, s1, 0x800, v31
	v_add_co_ci_u32_e64 v34, s1, 0, v32, s1
	v_add_co_u32 v31, s1, 0x1000, v31
	v_add_co_ci_u32_e64 v32, s1, 0, v32, s1
	s_clause 0x1
	global_load_dword v33, v[33:34], off offset:152
	global_load_dword v31, v[31:32], off offset:524
	ds_read_b32 v32, v43 offset:2200
	ds_read_b32 v34, v43 offset:4620
	s_waitcnt lgkmcnt(1)
	v_lshrrev_b32_e32 v37, 16, v32
	s_waitcnt lgkmcnt(0)
	v_lshrrev_b32_e32 v38, 16, v34
	s_waitcnt vmcnt(1)
	v_mul_f16_sdwa v40, v37, v33 dst_sel:DWORD dst_unused:UNUSED_PAD src0_sel:DWORD src1_sel:WORD_1
	v_mul_f16_sdwa v42, v32, v33 dst_sel:DWORD dst_unused:UNUSED_PAD src0_sel:DWORD src1_sel:WORD_1
	s_waitcnt vmcnt(0)
	v_mul_f16_sdwa v73, v38, v31 dst_sel:DWORD dst_unused:UNUSED_PAD src0_sel:DWORD src1_sel:WORD_1
	v_mul_f16_sdwa v74, v34, v31 dst_sel:DWORD dst_unused:UNUSED_PAD src0_sel:DWORD src1_sel:WORD_1
	v_fma_f16 v32, v32, v33, -v40
	v_fmac_f16_e32 v42, v37, v33
	v_fma_f16 v33, v34, v31, -v73
	v_fmac_f16_e32 v74, v38, v31
	v_pack_b32_f16 v31, v32, v42
	v_pack_b32_f16 v32, v33, v74
	ds_write_b32 v43, v31 offset:2200
	ds_write_b32 v43, v32 offset:4620
.LBB0_13:
	s_or_b32 exec_lo, exec_lo, s2
	s_waitcnt lgkmcnt(0)
	s_barrier
	buffer_gl0_inv
	ds_read2_b32 v[37:38], v43 offset1:110
	ds_read2_b32 v[33:34], v36 offset0:56 offset1:221
	ds_read2_b32 v[39:40], v39 offset0:75 offset1:185
	;; [unrolled: 1-line block ×4, first 2 shown]
	v_add_nc_u32_e32 v74, 0xa50, v60
	v_add_nc_u32_e32 v73, 0xdc0, v60
	s_and_saveexec_b32 s1, vcc_lo
	s_cbranch_execz .LBB0_15
; %bb.14:
	ds_read_b32 v71, v43 offset:2200
	ds_read_b32 v69, v43 offset:4620
	s_waitcnt lgkmcnt(1)
	v_lshrrev_b32_e32 v72, 16, v71
	s_waitcnt lgkmcnt(0)
	v_lshrrev_b32_e32 v70, 16, v69
.LBB0_15:
	s_or_b32 exec_lo, exec_lo, s1
	s_waitcnt lgkmcnt(3)
	v_pk_add_f16 v76, v37, v34 neg_lo:[0,1] neg_hi:[0,1]
	v_sub_f16_e32 v32, v71, v69
	v_sub_f16_e32 v69, v72, v70
	s_waitcnt lgkmcnt(2)
	v_pk_add_f16 v39, v38, v39 neg_lo:[0,1] neg_hi:[0,1]
	s_waitcnt lgkmcnt(1)
	v_pk_add_f16 v78, v35, v40 neg_lo:[0,1] neg_hi:[0,1]
	;; [unrolled: 2-line block ×3, first 2 shown]
	v_pk_add_f16 v34, v33, v42 neg_lo:[0,1] neg_hi:[0,1]
	v_fma_f16 v31, v71, 2.0, -v32
	v_fma_f16 v60, v72, 2.0, -v69
	v_pk_fma_f16 v75, v37, 2.0, v76 op_sel_hi:[1,0,1] neg_lo:[0,0,1] neg_hi:[0,0,1]
	v_pk_fma_f16 v38, v38, 2.0, v39 op_sel_hi:[1,0,1] neg_lo:[0,0,1] neg_hi:[0,0,1]
	;; [unrolled: 1-line block ×5, first 2 shown]
	s_barrier
	buffer_gl0_inv
	ds_write_b64 v56, v[75:76]
	ds_write_b64 v57, v[38:39]
	;; [unrolled: 1-line block ×5, first 2 shown]
	s_and_saveexec_b32 s1, vcc_lo
	s_cbranch_execz .LBB0_17
; %bb.16:
	v_perm_b32 v34, v69, v32, 0x5040100
	v_perm_b32 v33, v60, v31, 0x5040100
	ds_write_b64 v58, v[33:34]
.LBB0_17:
	s_or_b32 exec_lo, exec_lo, s1
	v_add_nc_u32_e32 v35, 0x200, v43
	v_add_nc_u32_e32 v36, 0x600, v43
	;; [unrolled: 1-line block ×4, first 2 shown]
	s_waitcnt lgkmcnt(0)
	s_barrier
	buffer_gl0_inv
	ds_read2_b32 v[33:34], v43 offset1:110
	ds_read2_b32 v[41:42], v35 offset0:114 offset1:224
	ds_read2_b32 v[39:40], v36 offset0:100 offset1:210
	;; [unrolled: 1-line block ×4, first 2 shown]
	s_and_saveexec_b32 s1, s0
	s_cbranch_execz .LBB0_19
; %bb.18:
	v_add_nc_u32_e32 v27, 0x340, v43
	v_add_nc_u32_e32 v28, 0xb00, v43
	ds_read2_b32 v[31:32], v27 offset0:12 offset1:254
	ds_read2_b32 v[27:28], v28 offset1:242
	ds_read_b32 v64, v43 offset:4752
	s_waitcnt lgkmcnt(2)
	v_lshrrev_b32_e32 v60, 16, v31
	v_lshrrev_b32_e32 v69, 16, v32
	s_waitcnt lgkmcnt(1)
	v_lshrrev_b32_e32 v67, 16, v27
	v_lshrrev_b32_e32 v66, 16, v28
	s_waitcnt lgkmcnt(0)
	v_lshrrev_b32_e32 v65, 16, v64
.LBB0_19:
	s_or_b32 exec_lo, exec_lo, s1
	s_waitcnt lgkmcnt(3)
	v_lshrrev_b32_e32 v57, 16, v41
	s_waitcnt lgkmcnt(2)
	v_lshrrev_b32_e32 v58, 16, v39
	;; [unrolled: 2-line block ×4, first 2 shown]
	v_mul_f16_sdwa v74, v0, v41 dst_sel:DWORD dst_unused:UNUSED_PAD src0_sel:WORD_1 src1_sel:DWORD
	v_mul_f16_sdwa v73, v0, v57 dst_sel:DWORD dst_unused:UNUSED_PAD src0_sel:WORD_1 src1_sel:DWORD
	v_lshrrev_b32_e32 v72, 16, v42
	v_mul_f16_sdwa v78, v2, v59 dst_sel:DWORD dst_unused:UNUSED_PAD src0_sel:WORD_1 src1_sel:DWORD
	v_mul_f16_sdwa v79, v2, v37 dst_sel:DWORD dst_unused:UNUSED_PAD src0_sel:WORD_1 src1_sel:DWORD
	;; [unrolled: 1-line block ×3, first 2 shown]
	v_fmac_f16_e32 v73, v0, v41
	v_fma_f16 v41, v0, v57, -v74
	v_mul_f16_sdwa v57, v1, v58 dst_sel:DWORD dst_unused:UNUSED_PAD src0_sel:WORD_1 src1_sel:DWORD
	v_mul_f16_sdwa v74, v1, v39 dst_sel:DWORD dst_unused:UNUSED_PAD src0_sel:WORD_1 src1_sel:DWORD
	v_lshrrev_b32_e32 v75, 16, v40
	v_fmac_f16_e32 v78, v2, v37
	v_fma_f16 v37, v2, v59, -v79
	v_fmac_f16_e32 v57, v1, v39
	v_fma_f16 v39, v1, v58, -v74
	v_fmac_f16_e32 v80, v3, v35
	v_mul_f16_sdwa v35, v3, v35 dst_sel:DWORD dst_unused:UNUSED_PAD src0_sel:WORD_1 src1_sel:DWORD
	v_mul_f16_sdwa v58, v0, v72 dst_sel:DWORD dst_unused:UNUSED_PAD src0_sel:WORD_1 src1_sel:DWORD
	;; [unrolled: 1-line block ×3, first 2 shown]
	v_lshrrev_b32_e32 v76, 16, v38
	v_lshrrev_b32_e32 v77, 16, v36
	v_mul_f16_sdwa v74, v1, v75 dst_sel:DWORD dst_unused:UNUSED_PAD src0_sel:WORD_1 src1_sel:DWORD
	v_mul_f16_sdwa v79, v1, v40 dst_sel:DWORD dst_unused:UNUSED_PAD src0_sel:WORD_1 src1_sel:DWORD
	v_fma_f16 v35, v3, v70, -v35
	v_fmac_f16_e32 v58, v0, v42
	v_fma_f16 v42, v0, v72, -v59
	v_add_f16_e32 v59, v57, v78
	v_lshrrev_b32_e32 v56, 16, v33
	v_fmac_f16_e32 v74, v1, v40
	v_fma_f16 v40, v1, v75, -v79
	v_mul_f16_sdwa v70, v2, v76 dst_sel:DWORD dst_unused:UNUSED_PAD src0_sel:WORD_1 src1_sel:DWORD
	v_mul_f16_sdwa v72, v2, v38 dst_sel:DWORD dst_unused:UNUSED_PAD src0_sel:WORD_1 src1_sel:DWORD
	;; [unrolled: 1-line block ×3, first 2 shown]
	v_add_f16_e32 v79, v33, v73
	v_fma_f16 v59, -0.5, v59, v33
	v_sub_f16_e32 v81, v41, v35
	v_add_f16_e32 v84, v73, v80
	v_fmac_f16_e32 v70, v2, v38
	v_fma_f16 v38, v2, v76, -v72
	v_fmac_f16_e32 v75, v3, v36
	v_add_f16_e32 v72, v79, v57
	v_fmamk_f16 v76, v81, 0xbb9c, v59
	v_sub_f16_e32 v79, v39, v37
	v_sub_f16_e32 v82, v73, v57
	;; [unrolled: 1-line block ×3, first 2 shown]
	v_mul_f16_sdwa v36, v3, v36 dst_sel:DWORD dst_unused:UNUSED_PAD src0_sel:WORD_1 src1_sel:DWORD
	v_fma_f16 v33, -0.5, v84, v33
	v_fmac_f16_e32 v59, 0x3b9c, v81
	v_add_f16_e32 v85, v56, v41
	v_fmac_f16_e32 v76, 0xb8b4, v79
	v_add_f16_e32 v82, v82, v83
	v_fma_f16 v36, v3, v77, -v36
	v_fmamk_f16 v77, v79, 0x3b9c, v33
	v_sub_f16_e32 v83, v57, v73
	v_sub_f16_e32 v84, v78, v80
	v_fmac_f16_e32 v59, 0x38b4, v79
	v_add_f16_e32 v86, v39, v37
	v_fmac_f16_e32 v33, 0xbb9c, v79
	v_add_f16_e32 v79, v85, v39
	v_add_f16_e32 v72, v72, v78
	v_fmac_f16_e32 v77, 0xb8b4, v81
	v_add_f16_e32 v83, v83, v84
	v_fma_f16 v84, -0.5, v86, v56
	v_sub_f16_e32 v73, v73, v80
	v_fmac_f16_e32 v33, 0x38b4, v81
	v_add_f16_e32 v79, v79, v37
	v_add_f16_e32 v81, v41, v35
	;; [unrolled: 1-line block ×3, first 2 shown]
	v_fmac_f16_e32 v76, 0x34f2, v82
	v_fmac_f16_e32 v59, 0x34f2, v82
	v_fmamk_f16 v80, v73, 0x3b9c, v84
	v_sub_f16_e32 v57, v57, v78
	v_sub_f16_e32 v78, v41, v39
	;; [unrolled: 1-line block ×3, first 2 shown]
	v_fmac_f16_e32 v56, -0.5, v81
	v_add_f16_e32 v79, v79, v35
	v_fmac_f16_e32 v84, 0xbb9c, v73
	v_sub_f16_e32 v39, v39, v41
	v_sub_f16_e32 v35, v37, v35
	v_add_f16_e32 v37, v74, v70
	v_fmac_f16_e32 v80, 0x38b4, v57
	v_add_f16_e32 v78, v78, v82
	v_fmamk_f16 v81, v57, 0xbb9c, v56
	v_fmac_f16_e32 v84, 0xb8b4, v57
	v_add_f16_e32 v35, v39, v35
	v_fmac_f16_e32 v56, 0x3b9c, v57
	v_add_f16_e32 v39, v34, v58
	v_fma_f16 v37, -0.5, v37, v34
	v_sub_f16_e32 v41, v42, v36
	v_fmac_f16_e32 v77, 0x34f2, v83
	v_fmac_f16_e32 v33, 0x34f2, v83
	;; [unrolled: 1-line block ×6, first 2 shown]
	v_add_f16_e32 v39, v39, v74
	v_fmamk_f16 v57, v41, 0xbb9c, v37
	v_sub_f16_e32 v73, v40, v38
	v_sub_f16_e32 v78, v58, v74
	;; [unrolled: 1-line block ×3, first 2 shown]
	v_fmac_f16_e32 v37, 0x3b9c, v41
	v_add_f16_e32 v83, v58, v75
	v_lshrrev_b32_e32 v71, 16, v34
	v_add_f16_e32 v39, v39, v70
	v_fmac_f16_e32 v57, 0xb8b4, v73
	v_add_f16_e32 v78, v78, v82
	v_fmac_f16_e32 v37, 0x38b4, v73
	v_fmac_f16_e32 v34, -0.5, v83
	v_sub_f16_e32 v82, v74, v58
	v_sub_f16_e32 v83, v70, v75
	v_fmac_f16_e32 v81, 0x34f2, v35
	v_fmac_f16_e32 v56, 0x34f2, v35
	v_add_f16_e32 v35, v39, v75
	v_fmac_f16_e32 v57, 0x34f2, v78
	v_fmac_f16_e32 v37, 0x34f2, v78
	v_fmamk_f16 v39, v73, 0x3b9c, v34
	v_add_f16_e32 v78, v40, v38
	v_fmac_f16_e32 v34, 0xbb9c, v73
	v_add_f16_e32 v73, v71, v42
	v_sub_f16_e32 v58, v58, v75
	v_add_f16_e32 v75, v82, v83
	v_add_f16_e32 v82, v42, v36
	v_fma_f16 v78, -0.5, v78, v71
	v_fmac_f16_e32 v39, 0xb8b4, v41
	v_fmac_f16_e32 v34, 0x38b4, v41
	v_add_f16_e32 v41, v73, v40
	v_sub_f16_e32 v70, v74, v70
	v_fmac_f16_e32 v71, -0.5, v82
	v_fmamk_f16 v73, v58, 0x3b9c, v78
	v_fmac_f16_e32 v39, 0x34f2, v75
	v_fmac_f16_e32 v34, 0x34f2, v75
	v_sub_f16_e32 v74, v42, v40
	v_sub_f16_e32 v75, v36, v38
	v_add_f16_e32 v41, v41, v38
	v_fmamk_f16 v82, v70, 0xbb9c, v71
	v_sub_f16_e32 v40, v40, v42
	v_sub_f16_e32 v38, v38, v36
	v_fmac_f16_e32 v71, 0x3b9c, v70
	v_fmac_f16_e32 v78, 0xbb9c, v58
	;; [unrolled: 1-line block ×3, first 2 shown]
	v_add_f16_e32 v42, v74, v75
	v_fmac_f16_e32 v82, 0x38b4, v58
	v_add_f16_e32 v38, v40, v38
	v_fmac_f16_e32 v71, 0xb8b4, v58
	v_fmac_f16_e32 v78, 0xb8b4, v70
	v_add_f16_e32 v36, v41, v36
	v_pack_b32_f16 v40, v72, v79
	v_pack_b32_f16 v41, v76, v80
	v_fmac_f16_e32 v73, 0x34f2, v42
	v_fmac_f16_e32 v82, 0x34f2, v38
	;; [unrolled: 1-line block ×4, first 2 shown]
	v_pack_b32_f16 v38, v77, v81
	v_pack_b32_f16 v33, v33, v56
	s_barrier
	buffer_gl0_inv
	ds_write2_b32 v63, v40, v41 offset1:2
	v_pack_b32_f16 v40, v59, v84
	v_pack_b32_f16 v35, v35, v36
	;; [unrolled: 1-line block ×6, first 2 shown]
	ds_write2_b32 v63, v38, v33 offset0:4 offset1:6
	ds_write_b32 v63, v40 offset:32
	ds_write2_b32 v62, v35, v36 offset1:2
	ds_write2_b32 v62, v39, v34 offset0:4 offset1:6
	ds_write_b32 v62, v37 offset:32
	s_and_saveexec_b32 s1, s0
	s_cbranch_execz .LBB0_21
; %bb.20:
	v_mul_f16_sdwa v33, v0, v32 dst_sel:DWORD dst_unused:UNUSED_PAD src0_sel:WORD_1 src1_sel:DWORD
	v_mul_f16_sdwa v34, v1, v27 dst_sel:DWORD dst_unused:UNUSED_PAD src0_sel:WORD_1 src1_sel:DWORD
	;; [unrolled: 1-line block ×8, first 2 shown]
	v_fma_f16 v33, v0, v69, -v33
	v_fma_f16 v34, v1, v67, -v34
	;; [unrolled: 1-line block ×3, first 2 shown]
	v_fmac_f16_e32 v37, v1, v27
	v_fmac_f16_e32 v38, v2, v28
	;; [unrolled: 1-line block ×4, first 2 shown]
	v_fma_f16 v1, v3, v65, -v35
	v_sub_f16_e32 v3, v33, v34
	v_add_f16_e32 v0, v34, v36
	v_sub_f16_e32 v42, v39, v37
	v_sub_f16_e32 v56, v40, v38
	;; [unrolled: 1-line block ×4, first 2 shown]
	v_fma_f16 v0, -0.5, v0, v60
	v_sub_f16_e32 v35, v37, v38
	v_add_f16_e32 v42, v56, v42
	v_add_f16_e32 v3, v28, v3
	;; [unrolled: 1-line block ×4, first 2 shown]
	v_sub_f16_e32 v58, v34, v36
	v_add_f16_e32 v59, v31, v39
	v_sub_f16_e32 v33, v34, v33
	v_add_f16_e32 v28, v34, v28
	v_fmac_f16_e32 v60, -0.5, v56
	v_sub_f16_e32 v34, v36, v1
	v_add_f16_e32 v2, v37, v38
	v_sub_f16_e32 v27, v39, v40
	v_add_f16_e32 v28, v36, v28
	v_add_f16_e32 v56, v37, v59
	v_fmamk_f16 v36, v35, 0x3b9c, v60
	v_fmac_f16_e32 v60, 0xbb9c, v35
	v_add_f16_e32 v33, v34, v33
	v_add_f16_e32 v34, v40, v39
	v_fma_f16 v2, -0.5, v2, v31
	v_add_f16_e32 v1, v1, v28
	v_add_f16_e32 v28, v38, v56
	v_fmac_f16_e32 v36, 0xb8b4, v27
	v_fmac_f16_e32 v60, 0x38b4, v27
	v_fmac_f16_e32 v31, -0.5, v34
	v_fmamk_f16 v41, v27, 0x3b9c, v0
	v_fmamk_f16 v57, v32, 0xbb9c, v2
	v_fmac_f16_e32 v0, 0xbb9c, v27
	v_add_f16_e32 v27, v40, v28
	v_fmac_f16_e32 v36, 0x34f2, v33
	v_fmac_f16_e32 v60, 0x34f2, v33
	v_sub_f16_e32 v28, v37, v39
	v_sub_f16_e32 v33, v38, v40
	v_fmamk_f16 v34, v58, 0xbb9c, v31
	v_fmac_f16_e32 v31, 0x3b9c, v58
	v_fmac_f16_e32 v2, 0x3b9c, v32
	;; [unrolled: 1-line block ×5, first 2 shown]
	v_mul_u32_u24_e32 v35, 10, v61
	v_add_f16_e32 v28, v33, v28
	v_fmac_f16_e32 v34, 0x38b4, v32
	v_fmac_f16_e32 v31, 0xb8b4, v32
	;; [unrolled: 1-line block ×5, first 2 shown]
	v_or_b32_e32 v32, v35, v55
	v_fmac_f16_e32 v34, 0x34f2, v28
	v_fmac_f16_e32 v31, 0x34f2, v28
	;; [unrolled: 1-line block ×4, first 2 shown]
	v_lshlrev_b32_e32 v3, 2, v32
	v_pack_b32_f16 v1, v27, v1
	v_pack_b32_f16 v27, v57, v41
	;; [unrolled: 1-line block ×5, first 2 shown]
	ds_write2_b32 v3, v1, v27 offset1:2
	ds_write2_b32 v3, v28, v31 offset0:4 offset1:6
	ds_write_b32 v3, v0 offset:32
.LBB0_21:
	s_or_b32 exec_lo, exec_lo, s1
	s_waitcnt lgkmcnt(0)
	s_barrier
	buffer_gl0_inv
	v_add_nc_u32_e32 v2, 0x200, v43
	ds_read2_b32 v[27:28], v43 offset1:110
	v_add_nc_u32_e32 v0, 0x600, v43
	v_add_nc_u32_e32 v3, 0xa00, v43
	;; [unrolled: 1-line block ×3, first 2 shown]
	ds_read2_b32 v[31:32], v2 offset0:92 offset1:202
	ds_read_b32 v39, v43 offset:4400
	ds_read2_b32 v[33:34], v0 offset0:56 offset1:166
	ds_read2_b32 v[35:36], v3 offset0:20 offset1:130
	;; [unrolled: 1-line block ×3, first 2 shown]
	s_waitcnt lgkmcnt(0)
	s_barrier
	buffer_gl0_inv
	s_mov_b32 s4, 0xdfd760e6
	s_mov_b32 s5, 0x3f4b14bb
	v_lshrrev_b32_e32 v40, 16, v28
	v_mul_f16_sdwa v42, v8, v28 dst_sel:DWORD dst_unused:UNUSED_PAD src0_sel:WORD_1 src1_sel:DWORD
	v_lshrrev_b32_e32 v55, 16, v31
	v_lshrrev_b32_e32 v56, 16, v32
	v_mul_f16_sdwa v63, v8, v40 dst_sel:DWORD dst_unused:UNUSED_PAD src0_sel:WORD_1 src1_sel:DWORD
	v_lshrrev_b32_e32 v58, 16, v34
	v_fma_f16 v40, v8, v40, -v42
	v_mul_f16_sdwa v42, v9, v31 dst_sel:DWORD dst_unused:UNUSED_PAD src0_sel:WORD_1 src1_sel:DWORD
	v_mul_f16_sdwa v64, v10, v32 dst_sel:DWORD dst_unused:UNUSED_PAD src0_sel:WORD_1 src1_sel:DWORD
	;; [unrolled: 1-line block ×4, first 2 shown]
	v_fmac_f16_e32 v63, v8, v28
	v_lshrrev_b32_e32 v57, 16, v33
	v_fma_f16 v28, v9, v55, -v42
	v_fmac_f16_e32 v66, v9, v31
	v_fmac_f16_e32 v67, v10, v32
	v_fma_f16 v9, v10, v56, -v64
	v_mul_f16_sdwa v10, v4, v58 dst_sel:DWORD dst_unused:UNUSED_PAD src0_sel:WORD_1 src1_sel:DWORD
	v_add_f16_e32 v31, v27, v63
	v_lshrrev_b32_e32 v59, 16, v35
	v_mul_f16_sdwa v8, v11, v57 dst_sel:DWORD dst_unused:UNUSED_PAD src0_sel:WORD_1 src1_sel:DWORD
	v_mul_f16_sdwa v32, v4, v34 dst_sel:DWORD dst_unused:UNUSED_PAD src0_sel:WORD_1 src1_sel:DWORD
	v_fmac_f16_e32 v10, v4, v34
	v_add_f16_sdwa v34, v27, v40 dst_sel:DWORD dst_unused:UNUSED_PAD src0_sel:WORD_1 src1_sel:DWORD
	v_add_f16_e32 v31, v31, v66
	v_lshrrev_b32_e32 v60, 16, v36
	v_mul_f16_sdwa v65, v11, v33 dst_sel:DWORD dst_unused:UNUSED_PAD src0_sel:WORD_1 src1_sel:DWORD
	v_fmac_f16_e32 v8, v11, v33
	v_mul_f16_sdwa v33, v5, v59 dst_sel:DWORD dst_unused:UNUSED_PAD src0_sel:WORD_1 src1_sel:DWORD
	v_fma_f16 v4, v4, v58, -v32
	v_mul_f16_sdwa v32, v5, v35 dst_sel:DWORD dst_unused:UNUSED_PAD src0_sel:WORD_1 src1_sel:DWORD
	v_add_f16_e32 v34, v34, v28
	v_add_f16_e32 v31, v31, v67
	v_lshrrev_b32_e32 v61, 16, v37
	v_fma_f16 v11, v11, v57, -v65
	v_fmac_f16_e32 v33, v5, v35
	v_mul_f16_sdwa v35, v6, v60 dst_sel:DWORD dst_unused:UNUSED_PAD src0_sel:WORD_1 src1_sel:DWORD
	v_fma_f16 v5, v5, v59, -v32
	v_add_f16_e32 v32, v34, v9
	v_add_f16_e32 v31, v31, v8
	v_lshrrev_b32_e32 v62, 16, v38
	v_mul_f16_sdwa v42, v6, v36 dst_sel:DWORD dst_unused:UNUSED_PAD src0_sel:WORD_1 src1_sel:DWORD
	v_fmac_f16_e32 v35, v6, v36
	v_mul_f16_sdwa v34, v7, v61 dst_sel:DWORD dst_unused:UNUSED_PAD src0_sel:WORD_1 src1_sel:DWORD
	v_add_f16_e32 v32, v32, v11
	v_add_f16_e32 v31, v31, v10
	v_mul_f16_sdwa v36, v7, v37 dst_sel:DWORD dst_unused:UNUSED_PAD src0_sel:WORD_1 src1_sel:DWORD
	v_lshrrev_b32_e32 v41, 16, v39
	v_fma_f16 v6, v6, v60, -v42
	v_mul_f16_sdwa v42, v25, v62 dst_sel:DWORD dst_unused:UNUSED_PAD src0_sel:WORD_1 src1_sel:DWORD
	v_fmac_f16_e32 v34, v7, v37
	v_add_f16_e32 v32, v32, v4
	v_add_f16_e32 v31, v31, v33
	v_fma_f16 v7, v7, v61, -v36
	v_mul_f16_sdwa v36, v26, v39 dst_sel:DWORD dst_unused:UNUSED_PAD src0_sel:WORD_1 src1_sel:DWORD
	v_fmac_f16_e32 v42, v25, v38
	v_add_f16_e32 v32, v32, v5
	v_add_f16_e32 v31, v31, v35
	v_mul_f16_sdwa v37, v25, v38 dst_sel:DWORD dst_unused:UNUSED_PAD src0_sel:WORD_1 src1_sel:DWORD
	v_mul_f16_sdwa v38, v26, v41 dst_sel:DWORD dst_unused:UNUSED_PAD src0_sel:WORD_1 src1_sel:DWORD
	v_fma_f16 v36, v26, v41, -v36
	v_add_f16_e32 v32, v32, v6
	v_add_f16_e32 v31, v31, v34
	v_fma_f16 v25, v25, v62, -v37
	v_fmac_f16_e32 v38, v26, v39
	v_sub_f16_e32 v26, v40, v36
	v_add_f16_e32 v32, v32, v7
	v_add_f16_e32 v31, v31, v42
	;; [unrolled: 1-line block ×4, first 2 shown]
	v_mul_f16_e32 v40, 0xb853, v26
	v_sub_f16_e32 v72, v28, v25
	v_add_f16_e32 v32, v32, v25
	v_sub_f16_e32 v41, v63, v38
	v_mul_f16_e32 v55, 0x3abb, v37
	v_fmamk_f16 v56, v39, 0x3abb, v40
	v_add_f16_e32 v31, v31, v38
	v_mul_f16_e32 v38, 0xbb47, v26
	v_mul_f16_e32 v58, 0x36a6, v37
	;; [unrolled: 1-line block ×8, first 2 shown]
	v_add_f16_e32 v74, v66, v42
	v_mul_f16_e32 v75, 0xbb47, v72
	v_add_f16_e32 v25, v28, v25
	v_add_f16_e32 v32, v32, v36
	v_fmamk_f16 v36, v41, 0x3853, v55
	v_add_f16_e32 v56, v27, v56
	v_fma_f16 v40, v39, 0x3abb, -v40
	v_fmac_f16_e32 v55, 0xb853, v41
	v_fmamk_f16 v57, v39, 0x36a6, v38
	v_fmamk_f16 v60, v41, 0x3b47, v58
	v_fma_f16 v38, v39, 0x36a6, -v38
	v_fmac_f16_e32 v58, 0xbb47, v41
	v_fmamk_f16 v61, v39, 0xb08e, v59
	v_fmamk_f16 v63, v41, 0x3beb, v62
	;; [unrolled: 4-line block ×4, first 2 shown]
	v_fma_f16 v26, v39, 0xbbad, -v26
	v_fmac_f16_e32 v37, 0xb482, v41
	v_sub_f16_e32 v28, v66, v42
	v_fmamk_f16 v39, v74, 0x36a6, v75
	v_mul_f16_e32 v41, 0x36a6, v25
	v_add_f16_sdwa v36, v27, v36 dst_sel:DWORD dst_unused:UNUSED_PAD src0_sel:WORD_1 src1_sel:DWORD
	v_add_f16_e32 v40, v27, v40
	v_add_f16_sdwa v55, v27, v55 dst_sel:DWORD dst_unused:UNUSED_PAD src0_sel:WORD_1 src1_sel:DWORD
	v_add_f16_e32 v57, v27, v57
	;; [unrolled: 2-line block ×10, first 2 shown]
	v_fmamk_f16 v39, v28, 0x3b47, v41
	v_mul_f16_e32 v56, 0xba0c, v72
	v_fma_f16 v66, v74, 0x36a6, -v75
	v_fmac_f16_e32 v41, 0xbb47, v28
	v_mul_f16_e32 v73, 0xb93d, v25
	v_add_f16_e32 v36, v39, v36
	v_fmamk_f16 v39, v74, 0xb93d, v56
	v_add_f16_e32 v40, v66, v40
	v_add_f16_e32 v41, v41, v55
	v_fmamk_f16 v55, v28, 0x3a0c, v73
	v_mul_f16_e32 v66, 0x3482, v72
	v_add_f16_e32 v39, v39, v57
	v_fma_f16 v56, v74, 0xb93d, -v56
	v_fmac_f16_e32 v73, 0xba0c, v28
	v_add_f16_e32 v55, v55, v60
	v_fmamk_f16 v57, v74, 0xbbad, v66
	v_mul_f16_e32 v60, 0xbbad, v25
	v_add_f16_e32 v38, v56, v38
	v_add_f16_e32 v56, v73, v58
	v_mul_f16_e32 v58, 0x3beb, v72
	v_add_f16_e32 v57, v57, v61
	v_fmamk_f16 v61, v28, 0xb482, v60
	v_mul_f16_e32 v75, 0xb08e, v25
	v_fma_f16 v66, v74, 0xbbad, -v66
	v_fmamk_f16 v73, v74, 0xb08e, v58
	v_mul_f16_e32 v25, 0x3abb, v25
	v_add_f16_e32 v61, v61, v63
	v_fmamk_f16 v63, v28, 0xbbeb, v75
	v_fma_f16 v58, v74, 0xb08e, -v58
	v_fmac_f16_e32 v75, 0x3beb, v28
	v_fmac_f16_e32 v60, 0x3482, v28
	v_add_f16_e32 v59, v66, v59
	v_mul_f16_e32 v66, 0x3853, v72
	v_add_f16_e32 v63, v63, v70
	v_fmamk_f16 v70, v28, 0xb853, v25
	v_add_f16_e32 v58, v58, v64
	v_add_f16_e32 v64, v75, v65
	v_sub_f16_e32 v65, v9, v7
	v_add_f16_e32 v7, v9, v7
	v_add_f16_e32 v60, v60, v62
	;; [unrolled: 1-line block ×3, first 2 shown]
	v_fmamk_f16 v69, v74, 0x3abb, v66
	v_add_f16_e32 v42, v70, v42
	v_add_f16_e32 v70, v67, v34
	v_mul_f16_e32 v9, 0xbbeb, v65
	v_fma_f16 v66, v74, 0x3abb, -v66
	v_fmac_f16_e32 v25, 0x3853, v28
	v_sub_f16_e32 v28, v67, v34
	v_mul_f16_e32 v34, 0xb08e, v7
	v_fmamk_f16 v67, v70, 0xb08e, v9
	v_add_f16_e32 v26, v66, v26
	v_add_f16_e32 v25, v25, v27
	v_mul_f16_e32 v27, 0x3482, v65
	v_fmamk_f16 v66, v28, 0x3beb, v34
	v_add_f16_e32 v37, v67, v37
	v_fma_f16 v9, v70, 0xb08e, -v9
	v_fmac_f16_e32 v34, 0xbbeb, v28
	v_fmamk_f16 v67, v70, 0xbbad, v27
	v_add_f16_e32 v36, v66, v36
	v_mul_f16_e32 v66, 0xbbad, v7
	v_add_f16_e32 v9, v9, v40
	v_add_f16_e32 v34, v34, v41
	;; [unrolled: 1-line block ×3, first 2 shown]
	v_mul_f16_e32 v40, 0x3b47, v65
	v_fmamk_f16 v41, v28, 0xb482, v66
	v_mul_f16_e32 v67, 0x36a6, v7
	v_add_f16_e32 v69, v69, v71
	v_fma_f16 v27, v70, 0xbbad, -v27
	v_fmac_f16_e32 v66, 0x3482, v28
	v_fmamk_f16 v71, v70, 0x36a6, v40
	v_add_f16_e32 v41, v41, v55
	v_fmamk_f16 v55, v28, 0xbb47, v67
	v_add_f16_e32 v27, v27, v38
	v_add_f16_e32 v38, v66, v56
	;; [unrolled: 1-line block ×3, first 2 shown]
	v_mul_f16_e32 v57, 0xb853, v65
	v_fma_f16 v40, v70, 0x36a6, -v40
	v_fmac_f16_e32 v67, 0x3b47, v28
	v_add_f16_e32 v55, v55, v61
	v_mul_f16_e32 v61, 0x3abb, v7
	v_fmamk_f16 v66, v70, 0x3abb, v57
	v_add_f16_e32 v40, v40, v59
	v_add_f16_e32 v59, v67, v60
	v_mul_f16_e32 v60, 0xba0c, v65
	v_fmamk_f16 v65, v28, 0x3853, v61
	v_fma_f16 v57, v70, 0x3abb, -v57
	v_fmac_f16_e32 v61, 0xb853, v28
	v_add_f16_e32 v62, v66, v62
	v_fmamk_f16 v66, v70, 0xb93d, v60
	v_mul_f16_e32 v7, 0xb93d, v7
	v_add_f16_e32 v57, v57, v58
	v_add_f16_e32 v58, v61, v64
	v_sub_f16_e32 v64, v11, v6
	v_add_f16_e32 v6, v11, v6
	v_add_f16_e32 v63, v65, v63
	;; [unrolled: 1-line block ×3, first 2 shown]
	v_fmamk_f16 v65, v28, 0x3a0c, v7
	v_fma_f16 v60, v70, 0xb93d, -v60
	v_add_f16_e32 v11, v8, v35
	v_mul_f16_e32 v66, 0xba0c, v64
	v_fmac_f16_e32 v7, 0xba0c, v28
	v_sub_f16_e32 v8, v8, v35
	v_mul_f16_e32 v28, 0xb93d, v6
	v_add_f16_e32 v35, v65, v42
	v_fmamk_f16 v42, v11, 0xb93d, v66
	v_add_f16_e32 v26, v60, v26
	v_add_f16_e32 v7, v7, v25
	v_fmamk_f16 v25, v8, 0x3a0c, v28
	v_mul_f16_e32 v60, 0x3beb, v64
	v_fmac_f16_e32 v28, 0xba0c, v8
	v_add_f16_e32 v37, v42, v37
	v_fma_f16 v42, v11, 0xb93d, -v66
	v_add_f16_e32 v25, v25, v36
	v_fmamk_f16 v36, v11, 0xb08e, v60
	v_mul_f16_e32 v65, 0xb08e, v6
	v_add_f16_e32 v28, v28, v34
	v_mul_f16_e32 v34, 0xb853, v64
	v_add_f16_e32 v9, v42, v9
	v_add_f16_e32 v36, v36, v39
	v_fmamk_f16 v39, v8, 0xbbeb, v65
	v_fma_f16 v42, v11, 0xb08e, -v60
	v_fmamk_f16 v60, v11, 0x3abb, v34
	v_mul_f16_e32 v66, 0x3abb, v6
	v_fma_f16 v34, v11, 0x3abb, -v34
	v_add_f16_e32 v39, v39, v41
	v_add_f16_e32 v27, v42, v27
	;; [unrolled: 1-line block ×3, first 2 shown]
	v_fmamk_f16 v42, v8, 0x3853, v66
	v_mul_f16_e32 v56, 0xb482, v64
	v_fmac_f16_e32 v66, 0xb853, v8
	v_mul_f16_e32 v60, 0xbbad, v6
	v_add_f16_e32 v34, v34, v40
	v_add_f16_e32 v42, v42, v55
	v_fmamk_f16 v55, v11, 0xbbad, v56
	v_add_f16_e32 v40, v66, v59
	v_fmamk_f16 v59, v8, 0x3482, v60
	v_mul_f16_e32 v64, 0x3b47, v64
	v_fma_f16 v56, v11, 0xbbad, -v56
	v_fmac_f16_e32 v60, 0xb482, v8
	v_add_f16_e32 v55, v55, v62
	v_mul_f16_e32 v6, 0x36a6, v6
	v_fmamk_f16 v62, v11, 0x36a6, v64
	v_add_f16_e32 v56, v56, v57
	v_add_f16_e32 v57, v60, v58
	v_sub_f16_e32 v58, v4, v5
	v_add_f16_e32 v4, v4, v5
	v_fmac_f16_e32 v65, 0x3beb, v8
	v_add_f16_e32 v60, v62, v61
	v_fmamk_f16 v61, v8, 0xbb47, v6
	v_add_f16_e32 v62, v10, v33
	v_mul_f16_e32 v5, 0xb482, v58
	v_fmac_f16_e32 v6, 0x3b47, v8
	v_sub_f16_e32 v8, v10, v33
	v_mul_f16_e32 v10, 0xbbad, v4
	v_fma_f16 v11, v11, 0x36a6, -v64
	v_fmamk_f16 v33, v62, 0xbbad, v5
	v_add_f16_e32 v6, v6, v7
	v_fma_f16 v5, v62, 0xbbad, -v5
	v_fmamk_f16 v7, v8, 0x3482, v10
	v_add_f16_e32 v11, v11, v26
	v_add_f16_e32 v26, v33, v37
	v_mul_f16_e32 v33, 0x3853, v58
	v_fmac_f16_e32 v10, 0xb482, v8
	v_add_f16_e32 v7, v7, v25
	v_mul_f16_e32 v25, 0x3abb, v4
	v_add_f16_e32 v5, v5, v9
	v_fmamk_f16 v37, v62, 0x3abb, v33
	v_add_f16_e32 v9, v10, v28
	v_mul_f16_e32 v10, 0xba0c, v58
	v_fmamk_f16 v28, v8, 0xb853, v25
	v_add_f16_e32 v38, v65, v38
	v_add_f16_e32 v36, v37, v36
	v_fma_f16 v33, v62, 0x3abb, -v33
	v_fmac_f16_e32 v25, 0x3853, v8
	v_fmamk_f16 v37, v62, 0xb93d, v10
	v_add_f16_e32 v28, v28, v39
	v_mul_f16_e32 v39, 0xb93d, v4
	v_add_f16_e32 v27, v33, v27
	v_add_f16_e32 v25, v25, v38
	;; [unrolled: 1-line block ×3, first 2 shown]
	v_mul_f16_e32 v37, 0x3b47, v58
	v_fmamk_f16 v38, v8, 0x3a0c, v39
	v_add_f16_e32 v35, v61, v35
	v_fma_f16 v10, v62, 0xb93d, -v10
	v_fmac_f16_e32 v39, 0xba0c, v8
	v_mul_f16_e32 v41, 0x36a6, v4
	v_fmamk_f16 v61, v62, 0x36a6, v37
	v_add_f16_e32 v38, v38, v42
	v_mul_f16_e32 v42, 0xbbeb, v58
	v_fma_f16 v37, v62, 0x36a6, -v37
	v_mul_f16_e32 v4, 0xb08e, v4
	v_add_f16_e32 v59, v59, v63
	v_add_f16_e32 v10, v10, v34
	v_add_f16_e32 v34, v39, v40
	v_fmamk_f16 v39, v8, 0xbb47, v41
	v_add_f16_e32 v40, v61, v55
	v_fmamk_f16 v55, v62, 0xb08e, v42
	v_add_f16_e32 v37, v37, v56
	v_fmamk_f16 v56, v8, 0x3beb, v4
	v_fmac_f16_e32 v41, 0x3b47, v8
	v_fma_f16 v42, v62, 0xb08e, -v42
	v_fmac_f16_e32 v4, 0xbbeb, v8
	v_pack_b32_f16 v31, v31, v32
	v_pack_b32_f16 v7, v26, v7
	v_add_f16_e32 v39, v39, v59
	v_add_f16_e32 v55, v55, v60
	v_add_f16_e32 v8, v56, v35
	v_add_f16_e32 v41, v41, v57
	v_add_f16_e32 v11, v42, v11
	v_add_f16_e32 v4, v4, v6
	ds_write2_b32 v68, v31, v7 offset1:10
	v_pack_b32_f16 v6, v36, v28
	v_pack_b32_f16 v7, v33, v38
	;; [unrolled: 1-line block ×9, first 2 shown]
	ds_write2_b32 v68, v6, v7 offset0:20 offset1:30
	ds_write2_b32 v68, v26, v8 offset0:40 offset1:50
	;; [unrolled: 1-line block ×4, first 2 shown]
	ds_write_b32 v68, v5 offset:400
	s_waitcnt lgkmcnt(0)
	s_barrier
	buffer_gl0_inv
	ds_read2_b32 v[4:5], v43 offset1:110
	ds_read2_b32 v[6:7], v2 offset0:92 offset1:202
	ds_read2_b32 v[8:9], v0 offset0:56 offset1:166
	;; [unrolled: 1-line block ×4, first 2 shown]
	ds_read_b32 v27, v43 offset:4400
	s_waitcnt lgkmcnt(5)
	v_lshrrev_b32_e32 v28, 16, v5
	s_waitcnt lgkmcnt(4)
	v_lshrrev_b32_e32 v31, 16, v6
	v_lshrrev_b32_e32 v32, 16, v7
	s_waitcnt lgkmcnt(3)
	v_lshrrev_b32_e32 v33, 16, v8
	v_mul_f16_sdwa v39, v16, v5 dst_sel:DWORD dst_unused:UNUSED_PAD src0_sel:WORD_1 src1_sel:DWORD
	v_mul_f16_sdwa v38, v16, v28 dst_sel:DWORD dst_unused:UNUSED_PAD src0_sel:WORD_1 src1_sel:DWORD
	v_mul_f16_sdwa v41, v17, v31 dst_sel:DWORD dst_unused:UNUSED_PAD src0_sel:WORD_1 src1_sel:DWORD
	v_lshrrev_b32_e32 v34, 16, v9
	s_waitcnt lgkmcnt(2)
	v_lshrrev_b32_e32 v35, 16, v10
	v_lshrrev_b32_e32 v36, 16, v11
	v_fmac_f16_e32 v38, v16, v5
	v_fma_f16 v5, v16, v28, -v39
	v_mul_f16_sdwa v16, v17, v6 dst_sel:DWORD dst_unused:UNUSED_PAD src0_sel:WORD_1 src1_sel:DWORD
	v_fmac_f16_e32 v41, v17, v6
	v_mul_f16_sdwa v6, v18, v32 dst_sel:DWORD dst_unused:UNUSED_PAD src0_sel:WORD_1 src1_sel:DWORD
	v_mul_f16_sdwa v28, v18, v7 dst_sel:DWORD dst_unused:UNUSED_PAD src0_sel:WORD_1 src1_sel:DWORD
	;; [unrolled: 1-line block ×3, first 2 shown]
	v_fma_f16 v16, v17, v31, -v16
	v_mul_f16_sdwa v17, v19, v8 dst_sel:DWORD dst_unused:UNUSED_PAD src0_sel:WORD_1 src1_sel:DWORD
	v_fmac_f16_e32 v6, v18, v7
	v_fma_f16 v7, v18, v32, -v28
	v_fmac_f16_e32 v39, v19, v8
	v_mul_f16_sdwa v8, v12, v34 dst_sel:DWORD dst_unused:UNUSED_PAD src0_sel:WORD_1 src1_sel:DWORD
	v_add_f16_e32 v18, v4, v38
	v_fma_f16 v17, v19, v33, -v17
	v_mul_f16_sdwa v19, v12, v9 dst_sel:DWORD dst_unused:UNUSED_PAD src0_sel:WORD_1 src1_sel:DWORD
	v_mul_f16_sdwa v28, v13, v35 dst_sel:DWORD dst_unused:UNUSED_PAD src0_sel:WORD_1 src1_sel:DWORD
	v_fmac_f16_e32 v8, v12, v9
	v_add_f16_sdwa v9, v4, v5 dst_sel:DWORD dst_unused:UNUSED_PAD src0_sel:WORD_1 src1_sel:DWORD
	v_add_f16_e32 v18, v18, v41
	s_waitcnt lgkmcnt(1)
	v_lshrrev_b32_e32 v37, 16, v25
	v_fmac_f16_e32 v28, v13, v10
	v_mul_f16_sdwa v10, v13, v10 dst_sel:DWORD dst_unused:UNUSED_PAD src0_sel:WORD_1 src1_sel:DWORD
	v_add_f16_e32 v9, v9, v16
	v_add_f16_e32 v18, v18, v6
	v_fma_f16 v12, v12, v34, -v19
	v_mul_f16_sdwa v19, v14, v36 dst_sel:DWORD dst_unused:UNUSED_PAD src0_sel:WORD_1 src1_sel:DWORD
	v_mul_f16_sdwa v31, v14, v11 dst_sel:DWORD dst_unused:UNUSED_PAD src0_sel:WORD_1 src1_sel:DWORD
	v_fma_f16 v10, v13, v35, -v10
	v_add_f16_e32 v9, v9, v7
	v_add_f16_e32 v13, v18, v39
	v_lshrrev_b32_e32 v40, 16, v26
	v_fmac_f16_e32 v19, v14, v11
	v_fma_f16 v11, v14, v36, -v31
	v_mul_f16_sdwa v14, v15, v37 dst_sel:DWORD dst_unused:UNUSED_PAD src0_sel:WORD_1 src1_sel:DWORD
	v_add_f16_e32 v9, v9, v17
	v_add_f16_e32 v13, v13, v8
	v_mul_f16_sdwa v18, v15, v25 dst_sel:DWORD dst_unused:UNUSED_PAD src0_sel:WORD_1 src1_sel:DWORD
	s_waitcnt lgkmcnt(0)
	v_lshrrev_b32_e32 v42, 16, v27
	v_mul_f16_sdwa v31, v29, v40 dst_sel:DWORD dst_unused:UNUSED_PAD src0_sel:WORD_1 src1_sel:DWORD
	v_fmac_f16_e32 v14, v15, v25
	v_add_f16_e32 v9, v9, v12
	v_add_f16_e32 v13, v13, v28
	v_fma_f16 v15, v15, v37, -v18
	v_mul_f16_sdwa v18, v30, v27 dst_sel:DWORD dst_unused:UNUSED_PAD src0_sel:WORD_1 src1_sel:DWORD
	v_fmac_f16_e32 v31, v29, v26
	v_add_f16_e32 v9, v9, v10
	v_add_f16_e32 v13, v13, v19
	v_mul_f16_sdwa v25, v29, v26 dst_sel:DWORD dst_unused:UNUSED_PAD src0_sel:WORD_1 src1_sel:DWORD
	v_mul_f16_sdwa v26, v30, v42 dst_sel:DWORD dst_unused:UNUSED_PAD src0_sel:WORD_1 src1_sel:DWORD
	v_fma_f16 v18, v30, v42, -v18
	v_add_f16_e32 v9, v9, v11
	v_add_f16_e32 v13, v13, v14
	v_fma_f16 v25, v29, v40, -v25
	v_fmac_f16_e32 v26, v30, v27
	v_sub_f16_e32 v27, v5, v18
	v_add_f16_e32 v9, v9, v15
	v_add_f16_e32 v13, v13, v31
	;; [unrolled: 1-line block ×4, first 2 shown]
	v_mul_f16_e32 v30, 0xb853, v27
	v_sub_f16_e32 v61, v16, v25
	v_add_f16_e32 v9, v9, v25
	v_sub_f16_e32 v32, v38, v26
	v_mul_f16_e32 v33, 0x3abb, v5
	v_fmamk_f16 v34, v29, 0x3abb, v30
	v_add_f16_e32 v13, v13, v26
	v_mul_f16_e32 v26, 0xbb47, v27
	v_mul_f16_e32 v36, 0x36a6, v5
	;; [unrolled: 1-line block ×8, first 2 shown]
	v_add_f16_e32 v63, v41, v31
	v_mul_f16_e32 v64, 0xbb47, v61
	v_add_f16_e32 v16, v16, v25
	v_add_f16_e32 v9, v9, v18
	v_fmamk_f16 v18, v32, 0x3853, v33
	v_add_f16_e32 v34, v4, v34
	v_fma_f16 v30, v29, 0x3abb, -v30
	v_fmac_f16_e32 v33, 0xb853, v32
	v_fmamk_f16 v35, v29, 0x36a6, v26
	v_fmamk_f16 v38, v32, 0x3b47, v36
	v_fma_f16 v26, v29, 0x36a6, -v26
	v_fmac_f16_e32 v36, 0xbb47, v32
	v_fmamk_f16 v40, v29, 0xb08e, v37
	v_fmamk_f16 v55, v32, 0x3beb, v42
	;; [unrolled: 4-line block ×4, first 2 shown]
	v_fma_f16 v25, v29, 0xbbad, -v27
	v_fmac_f16_e32 v5, 0xb482, v32
	v_sub_f16_e32 v27, v41, v31
	v_fmamk_f16 v29, v63, 0x36a6, v64
	v_mul_f16_e32 v31, 0x36a6, v16
	v_add_f16_sdwa v18, v4, v18 dst_sel:DWORD dst_unused:UNUSED_PAD src0_sel:WORD_1 src1_sel:DWORD
	v_add_f16_e32 v30, v4, v30
	v_add_f16_sdwa v33, v4, v33 dst_sel:DWORD dst_unused:UNUSED_PAD src0_sel:WORD_1 src1_sel:DWORD
	v_add_f16_e32 v35, v4, v35
	;; [unrolled: 2-line block ×10, first 2 shown]
	v_fmamk_f16 v29, v27, 0x3b47, v31
	v_mul_f16_e32 v34, 0xba0c, v61
	v_fma_f16 v41, v63, 0x36a6, -v64
	v_fmac_f16_e32 v31, 0xbb47, v27
	v_mul_f16_e32 v62, 0xb93d, v16
	v_add_f16_e32 v18, v29, v18
	v_fmamk_f16 v29, v63, 0xb93d, v34
	v_add_f16_e32 v30, v41, v30
	v_add_f16_e32 v31, v31, v33
	v_fmamk_f16 v33, v27, 0x3a0c, v62
	v_mul_f16_e32 v41, 0x3482, v61
	v_add_f16_e32 v29, v29, v35
	v_fma_f16 v34, v63, 0xb93d, -v34
	v_fmac_f16_e32 v62, 0xba0c, v27
	v_add_f16_e32 v33, v33, v38
	v_fmamk_f16 v35, v63, 0xbbad, v41
	v_mul_f16_e32 v38, 0xbbad, v16
	v_add_f16_e32 v26, v34, v26
	v_add_f16_e32 v34, v62, v36
	v_mul_f16_e32 v36, 0x3beb, v61
	v_add_f16_e32 v35, v35, v40
	v_fmamk_f16 v40, v27, 0xb482, v38
	v_fmac_f16_e32 v38, 0x3482, v27
	v_mul_f16_e32 v64, 0xb08e, v16
	v_fmamk_f16 v62, v63, 0xb08e, v36
	v_mul_f16_e32 v16, 0x3abb, v16
	v_fma_f16 v36, v63, 0xb08e, -v36
	v_add_f16_e32 v38, v38, v42
	v_fmamk_f16 v42, v27, 0xbbeb, v64
	v_fmac_f16_e32 v64, 0x3beb, v27
	v_fma_f16 v41, v63, 0xbbad, -v41
	v_add_f16_e32 v40, v40, v55
	v_mul_f16_e32 v55, 0x3853, v61
	v_add_f16_e32 v42, v42, v59
	v_fmamk_f16 v59, v27, 0xb853, v16
	v_add_f16_e32 v36, v36, v56
	v_add_f16_e32 v56, v64, v57
	v_sub_f16_e32 v57, v7, v15
	v_add_f16_e32 v7, v7, v15
	v_add_f16_e32 v37, v41, v37
	;; [unrolled: 1-line block ×3, first 2 shown]
	v_fmamk_f16 v58, v63, 0x3abb, v55
	v_add_f16_e32 v32, v59, v32
	v_add_f16_e32 v59, v6, v14
	v_mul_f16_e32 v15, 0xbbeb, v57
	v_fma_f16 v55, v63, 0x3abb, -v55
	v_fmac_f16_e32 v16, 0x3853, v27
	v_sub_f16_e32 v6, v6, v14
	v_mul_f16_e32 v14, 0xb08e, v7
	v_fmamk_f16 v27, v59, 0xb08e, v15
	v_add_f16_e32 v25, v55, v25
	v_add_f16_e32 v4, v16, v4
	v_mul_f16_e32 v16, 0x3482, v57
	v_fmamk_f16 v55, v6, 0x3beb, v14
	v_add_f16_e32 v5, v27, v5
	v_fma_f16 v15, v59, 0xb08e, -v15
	v_fmac_f16_e32 v14, 0xbbeb, v6
	v_fmamk_f16 v27, v59, 0xbbad, v16
	v_add_f16_e32 v18, v55, v18
	v_mul_f16_e32 v55, 0xbbad, v7
	v_add_f16_e32 v15, v15, v30
	v_add_f16_e32 v14, v14, v31
	v_add_f16_e32 v27, v27, v29
	v_mul_f16_e32 v29, 0x3b47, v57
	v_fmamk_f16 v30, v6, 0xb482, v55
	v_mul_f16_e32 v31, 0x36a6, v7
	v_add_f16_e32 v58, v58, v60
	v_fma_f16 v16, v59, 0xbbad, -v16
	v_fmac_f16_e32 v55, 0x3482, v6
	v_fmamk_f16 v60, v59, 0x36a6, v29
	v_add_f16_e32 v30, v30, v33
	v_fmamk_f16 v33, v6, 0xbb47, v31
	v_add_f16_e32 v16, v16, v26
	v_add_f16_e32 v26, v55, v34
	v_add_f16_e32 v34, v60, v35
	v_mul_f16_e32 v35, 0xb853, v57
	v_fma_f16 v29, v59, 0x36a6, -v29
	v_fmac_f16_e32 v31, 0x3b47, v6
	v_add_f16_e32 v33, v33, v40
	v_mul_f16_e32 v40, 0x3abb, v7
	v_fmamk_f16 v55, v59, 0x3abb, v35
	v_add_f16_e32 v29, v29, v37
	v_add_f16_e32 v31, v31, v38
	v_mul_f16_e32 v37, 0xba0c, v57
	v_fmamk_f16 v38, v6, 0x3853, v40
	v_add_f16_e32 v41, v55, v41
	v_fma_f16 v35, v59, 0x3abb, -v35
	v_fmac_f16_e32 v40, 0xb853, v6
	v_fmamk_f16 v55, v59, 0xb93d, v37
	v_add_f16_e32 v38, v38, v42
	v_mul_f16_e32 v7, 0xb93d, v7
	v_sub_f16_e32 v42, v17, v11
	v_add_f16_e32 v11, v17, v11
	v_add_f16_e32 v35, v35, v36
	v_add_f16_e32 v36, v40, v56
	v_add_f16_e32 v40, v55, v58
	v_fmamk_f16 v55, v6, 0x3a0c, v7
	v_fma_f16 v37, v59, 0xb93d, -v37
	v_add_f16_e32 v17, v39, v19
	v_mul_f16_e32 v56, 0xba0c, v42
	v_fmac_f16_e32 v7, 0xba0c, v6
	v_sub_f16_e32 v6, v39, v19
	v_mul_f16_e32 v19, 0xb93d, v11
	v_add_f16_e32 v25, v37, v25
	v_fmamk_f16 v39, v17, 0xb93d, v56
	v_add_f16_e32 v4, v7, v4
	v_mul_f16_e32 v37, 0x3beb, v42
	v_fmamk_f16 v7, v6, 0x3a0c, v19
	v_fmac_f16_e32 v19, 0xba0c, v6
	v_add_f16_e32 v32, v55, v32
	v_add_f16_e32 v5, v39, v5
	v_fma_f16 v39, v17, 0xb93d, -v56
	v_add_f16_e32 v7, v7, v18
	v_fmamk_f16 v18, v17, 0xb08e, v37
	v_mul_f16_e32 v55, 0xb08e, v11
	v_add_f16_e32 v14, v19, v14
	v_mul_f16_e32 v19, 0xb853, v42
	v_add_f16_e32 v15, v39, v15
	v_add_f16_e32 v18, v18, v27
	v_fmamk_f16 v27, v6, 0xbbeb, v55
	v_fma_f16 v37, v17, 0xb08e, -v37
	v_fmamk_f16 v39, v17, 0x3abb, v19
	v_mul_f16_e32 v56, 0x3abb, v11
	v_fma_f16 v19, v17, 0x3abb, -v19
	v_add_f16_e32 v27, v27, v30
	v_add_f16_e32 v16, v37, v16
	;; [unrolled: 1-line block ×3, first 2 shown]
	v_fmamk_f16 v34, v6, 0x3853, v56
	v_mul_f16_e32 v37, 0xb482, v42
	v_mul_f16_e32 v39, 0xbbad, v11
	v_add_f16_e32 v19, v19, v29
	v_mul_f16_e32 v42, 0x3b47, v42
	v_add_f16_e32 v33, v34, v33
	v_fmamk_f16 v34, v17, 0xbbad, v37
	v_fmamk_f16 v29, v6, 0x3482, v39
	v_fma_f16 v37, v17, 0xbbad, -v37
	v_fmac_f16_e32 v39, 0xb482, v6
	v_mul_f16_e32 v11, 0x36a6, v11
	v_add_f16_e32 v34, v34, v41
	v_add_f16_e32 v29, v29, v38
	v_fmamk_f16 v38, v17, 0x36a6, v42
	v_add_f16_e32 v35, v37, v35
	v_sub_f16_e32 v37, v12, v10
	v_add_f16_e32 v10, v12, v10
	v_fmac_f16_e32 v55, 0x3beb, v6
	v_add_f16_e32 v38, v38, v40
	v_add_f16_e32 v40, v8, v28
	v_mul_f16_e32 v41, 0xb482, v37
	v_fmac_f16_e32 v56, 0xb853, v6
	v_add_f16_e32 v36, v39, v36
	v_fmamk_f16 v39, v6, 0xbb47, v11
	v_fma_f16 v12, v17, 0x36a6, -v42
	v_fmac_f16_e32 v11, 0x3b47, v6
	v_sub_f16_e32 v6, v8, v28
	v_fmamk_f16 v8, v40, 0xbbad, v41
	v_mul_f16_e32 v17, 0xbbad, v10
	v_add_f16_e32 v28, v39, v32
	v_add_f16_e32 v12, v12, v25
	;; [unrolled: 1-line block ×4, first 2 shown]
	v_fmamk_f16 v8, v6, 0x3482, v17
	v_mul_f16_e32 v11, 0x3853, v37
	v_fma_f16 v25, v40, 0xbbad, -v41
	v_fmac_f16_e32 v17, 0xb482, v6
	v_mul_f16_e32 v32, 0x3abb, v10
	v_add_f16_e32 v26, v55, v26
	v_add_f16_e32 v7, v8, v7
	v_fmamk_f16 v8, v40, 0x3abb, v11
	v_add_f16_e32 v15, v25, v15
	v_add_f16_e32 v14, v17, v14
	v_fmamk_f16 v17, v6, 0xb853, v32
	v_mul_f16_e32 v25, 0xba0c, v37
	v_fma_f16 v11, v40, 0x3abb, -v11
	v_fmac_f16_e32 v32, 0x3853, v6
	v_add_f16_e32 v8, v8, v18
	v_add_f16_e32 v17, v17, v27
	v_fmamk_f16 v18, v40, 0xb93d, v25
	v_mul_f16_e32 v27, 0xb93d, v10
	v_add_f16_e32 v11, v11, v16
	v_add_f16_e32 v16, v32, v26
	v_mul_f16_e32 v26, 0x3b47, v37
	v_add_f16_e32 v31, v56, v31
	v_add_f16_e32 v18, v18, v30
	v_fmamk_f16 v30, v6, 0x3a0c, v27
	v_fma_f16 v25, v40, 0xb93d, -v25
	v_fmac_f16_e32 v27, 0xba0c, v6
	v_fmamk_f16 v32, v40, 0x36a6, v26
	v_mul_f16_e32 v39, 0x36a6, v10
	v_mul_f16_e32 v10, 0xb08e, v10
	v_add_f16_e32 v19, v25, v19
	v_add_f16_e32 v25, v27, v31
	;; [unrolled: 1-line block ×3, first 2 shown]
	v_mul_f16_e32 v32, 0xbbeb, v37
	v_add_f16_e32 v30, v30, v33
	v_fmamk_f16 v31, v6, 0xbb47, v39
	v_fmamk_f16 v34, v6, 0x3beb, v10
	v_fma_f16 v26, v40, 0x36a6, -v26
	v_fmamk_f16 v33, v40, 0xb08e, v32
	v_fmac_f16_e32 v39, 0x3b47, v6
	v_fma_f16 v32, v40, 0xb08e, -v32
	v_fmac_f16_e32 v10, 0xbbeb, v6
	v_pack_b32_f16 v6, v13, v9
	v_pack_b32_f16 v5, v5, v7
	v_add_f16_e32 v29, v31, v29
	v_add_f16_e32 v7, v33, v38
	;; [unrolled: 1-line block ×7, first 2 shown]
	ds_write2_b32 v43, v6, v5 offset1:110
	v_pack_b32_f16 v5, v8, v17
	v_pack_b32_f16 v6, v18, v30
	;; [unrolled: 1-line block ×9, first 2 shown]
	ds_write2_b32 v2, v5, v6 offset0:92 offset1:202
	ds_write2_b32 v0, v8, v7 offset0:56 offset1:166
	ds_write2_b32 v3, v4, v9 offset0:20 offset1:130
	ds_write2_b32 v1, v10, v11 offset0:112 offset1:222
	ds_write_b32 v43, v12 offset:4400
	s_waitcnt lgkmcnt(0)
	s_barrier
	buffer_gl0_inv
	ds_read2_b32 v[4:5], v43 offset1:110
	s_waitcnt lgkmcnt(0)
	v_lshrrev_b32_e32 v1, 16, v4
	v_mul_f16_sdwa v6, v54, v1 dst_sel:DWORD dst_unused:UNUSED_PAD src0_sel:WORD_1 src1_sel:DWORD
	v_fmac_f16_e32 v6, v54, v4
	v_mul_f16_sdwa v4, v54, v4 dst_sel:DWORD dst_unused:UNUSED_PAD src0_sel:WORD_1 src1_sel:DWORD
	v_cvt_f32_f16_e32 v6, v6
	v_fma_f16 v1, v54, v1, -v4
	v_cvt_f64_f32_e32 v[6:7], v6
	v_cvt_f32_f16_e32 v1, v1
	v_cvt_f64_f32_e32 v[8:9], v1
	v_mul_f64 v[6:7], v[6:7], s[4:5]
	v_mul_f64 v[8:9], v[8:9], s[4:5]
	v_and_or_b32 v1, 0x1ff, v7, v6
	v_lshrrev_b32_e32 v6, 8, v7
	v_bfe_u32 v10, v7, 20, 11
	v_cmp_ne_u32_e64 s0, 0, v1
	ds_read2_b32 v[0:1], v0 offset0:56 offset1:221
	v_and_or_b32 v8, 0x1ff, v9, v8
	v_add_nc_u32_e32 v16, 0xfffffc10, v10
	v_bfe_u32 v15, v9, 20, 11
	v_cndmask_b32_e64 v4, 0, 1, s0
	v_and_or_b32 v6, 0xffe, v6, v4
	v_sub_nc_u32_e32 v4, 0x3f1, v10
	v_lshrrev_b32_e32 v10, 8, v9
	v_or_b32_e32 v11, 0x1000, v6
	v_med3_i32 v4, v4, 0, 13
	v_lshrrev_b32_e32 v12, v4, v11
	s_waitcnt lgkmcnt(0)
	v_lshrrev_b32_e32 v14, 16, v1
	v_lshlrev_b32_e32 v4, v4, v12
	v_mul_f16_sdwa v13, v53, v14 dst_sel:DWORD dst_unused:UNUSED_PAD src0_sel:WORD_1 src1_sel:DWORD
	v_cmp_ne_u32_e64 s0, v4, v11
	v_fmac_f16_e32 v13, v53, v1
	v_mul_f16_sdwa v1, v53, v1 dst_sel:DWORD dst_unused:UNUSED_PAD src0_sel:WORD_1 src1_sel:DWORD
	v_cndmask_b32_e64 v4, 0, 1, s0
	v_cmp_ne_u32_e64 s0, 0, v8
	v_cvt_f32_f16_e32 v11, v13
	v_sub_nc_u32_e32 v13, 0x3f1, v15
	v_fma_f16 v1, v53, v14, -v1
	v_or_b32_e32 v4, v12, v4
	v_cndmask_b32_e64 v8, 0, 1, s0
	v_lshl_or_b32 v12, v16, 12, v6
	v_cmp_gt_i32_e64 s0, 1, v16
	v_med3_i32 v18, v13, 0, 13
	v_cvt_f32_f16_e32 v1, v1
	v_and_or_b32 v8, 0xffe, v10, v8
	v_cvt_f64_f32_e32 v[10:11], v11
	v_cndmask_b32_e64 v4, v12, v4, s0
	v_mad_u64_u32 v[12:13], null, s10, v24, 0
	v_or_b32_e32 v17, 0x1000, v8
	v_and_b32_e32 v19, 7, v4
	v_lshrrev_b32_e32 v25, v18, v17
	v_cmp_lt_i32_e64 s0, 5, v19
	v_cmp_eq_u32_e64 s1, 3, v19
	v_lshrrev_b32_e32 v19, 2, v4
	v_lshlrev_b32_e32 v18, v18, v25
	v_mov_b32_e32 v4, v13
	s_or_b32 s0, s1, s0
	v_add_co_ci_u32_e64 v13, s0, 0, v19, s0
	v_cmp_ne_u32_e64 s0, v18, v17
	v_mul_f64 v[10:11], v[10:11], s[4:5]
	v_add_nc_u32_e32 v18, 0xfffffc10, v15
	v_cndmask_b32_e64 v17, 0, 1, s0
	v_cmp_ne_u32_e64 s0, 0, v6
	v_or_b32_e32 v15, v25, v17
	v_cndmask_b32_e64 v6, 0, 1, s0
	v_cmp_gt_i32_e64 s0, 31, v16
	v_lshl_or_b32 v17, v18, 12, v8
	v_lshl_or_b32 v6, v6, 9, 0x7c00
	v_cndmask_b32_e64 v19, 0x7c00, v13, s0
	v_cmp_gt_i32_e64 s0, 1, v18
	v_mad_u64_u32 v[13:14], null, s11, v24, v[4:5]
	v_cndmask_b32_e64 v17, v17, v15, s0
	v_cvt_f64_f32_e32 v[14:15], v1
	v_and_or_b32 v1, 0x1ff, v11, v10
	v_cmp_eq_u32_e64 s0, 0x40f, v16
	v_lshrrev_b32_e32 v10, 8, v11
	v_and_b32_e32 v4, 7, v17
	v_cmp_ne_u32_e64 s2, 0, v1
	v_cndmask_b32_e64 v16, v19, v6, s0
	v_lshrrev_b32_e32 v19, 16, v7
	v_cmp_lt_i32_e64 s0, 5, v4
	v_cmp_eq_u32_e64 s1, 3, v4
	v_lshrrev_b32_e32 v4, 2, v17
	v_cndmask_b32_e64 v1, 0, 1, s2
	v_bfe_u32 v17, v11, 20, 11
	v_mad_u64_u32 v[6:7], null, s8, v52, 0
	s_or_b32 s0, s1, s0
	v_and_or_b32 v10, 0xffe, v10, v1
	v_add_co_ci_u32_e64 v4, s0, 0, v4, s0
	v_sub_nc_u32_e32 v24, 0x3f1, v17
	v_cmp_ne_u32_e64 s0, 0, v8
	v_mul_f64 v[14:15], v[14:15], s[4:5]
	v_mov_b32_e32 v1, v7
	v_or_b32_e32 v25, 0x1000, v10
	v_med3_i32 v24, v24, 0, 13
	v_cndmask_b32_e64 v8, 0, 1, s0
	v_cmp_gt_i32_e64 s0, 31, v18
	v_lshl_or_b32 v26, v8, 9, 0x7c00
	v_cndmask_b32_e64 v4, 0x7c00, v4, s0
	v_mad_u64_u32 v[7:8], null, s9, v52, v[1:2]
	v_lshrrev_b32_e32 v1, v24, v25
	v_cmp_eq_u32_e64 s0, 0x40f, v18
	v_lshrrev_b32_e32 v8, 16, v9
	v_and_or_b32 v9, 0x8000, v19, v16
	v_lshlrev_b32_e32 v16, v24, v1
	v_cndmask_b32_e64 v4, v4, v26, s0
	v_and_or_b32 v14, 0x1ff, v15, v14
	v_cmp_ne_u32_e64 s0, v16, v25
	v_and_or_b32 v4, 0x8000, v8, v4
	v_and_b32_e32 v8, 0xffff, v9
	v_add_nc_u32_e32 v16, 0xfffffc10, v17
	v_lshrrev_b32_e32 v17, 16, v5
	v_cndmask_b32_e64 v9, 0, 1, s0
	v_cmp_ne_u32_e64 s0, 0, v14
	v_lshl_or_b32 v18, v4, 16, v8
	v_lshl_or_b32 v4, v16, 12, v10
	v_mul_f16_sdwa v8, v51, v17 dst_sel:DWORD dst_unused:UNUSED_PAD src0_sel:WORD_1 src1_sel:DWORD
	v_or_b32_e32 v1, v1, v9
	v_cndmask_b32_e64 v9, 0, 1, s0
	v_cmp_gt_i32_e64 s0, 1, v16
	v_lshrrev_b32_e32 v14, 8, v15
	v_fmac_f16_e32 v8, v51, v5
	v_bfe_u32 v19, v15, 20, 11
	v_cndmask_b32_e64 v1, v4, v1, s0
	v_and_or_b32 v14, 0xffe, v14, v9
	v_cvt_f32_f16_e32 v24, v8
	v_lshlrev_b64 v[8:9], 2, v[12:13]
	v_sub_nc_u32_e32 v4, 0x3f1, v19
	v_and_b32_e32 v25, 7, v1
	v_or_b32_e32 v26, 0x1000, v14
	v_cvt_f64_f32_e32 v[12:13], v24
	v_lshrrev_b32_e32 v1, 2, v1
	v_add_co_u32 v24, s0, s6, v8
	v_med3_i32 v27, v4, 0, 13
	v_add_co_ci_u32_e64 v28, s0, s7, v9, s0
	v_cmp_lt_i32_e64 s0, 5, v25
	v_mul_f16_sdwa v8, v51, v5 dst_sel:DWORD dst_unused:UNUSED_PAD src0_sel:WORD_1 src1_sel:DWORD
	v_cmp_eq_u32_e64 s1, 3, v25
	v_lshrrev_b32_e32 v29, v27, v26
	v_lshlrev_b64 v[4:5], 2, v[6:7]
	s_mul_i32 s6, s8, 0x25d
	v_fma_f16 v6, v51, v17, -v8
	s_or_b32 s0, s1, s0
	v_lshlrev_b32_e32 v7, v27, v29
	v_add_co_ci_u32_e64 v1, s0, 0, v1, s0
	v_cmp_ne_u32_e64 s0, 0, v10
	v_cvt_f32_f16_e32 v6, v6
	v_mul_f64 v[8:9], v[12:13], s[4:5]
	v_cndmask_b32_e64 v10, 0, 1, s0
	v_cmp_ne_u32_e64 s0, v7, v26
	v_cvt_f64_f32_e32 v[6:7], v6
	v_add_nc_u32_e32 v12, 0xfffffc10, v19
	v_lshl_or_b32 v10, v10, 9, 0x7c00
	v_cndmask_b32_e64 v17, 0, 1, s0
	v_cmp_gt_i32_e64 s0, 31, v16
	v_or_b32_e32 v13, v29, v17
	v_cndmask_b32_e64 v1, 0x7c00, v1, s0
	v_add_co_u32 v4, s0, v24, v4
	v_add_co_ci_u32_e64 v5, s0, v28, v5, s0
	v_lshl_or_b32 v17, v12, 12, v14
	v_cmp_gt_i32_e64 s0, 1, v12
	global_store_dword v[4:5], v18, off
	v_and_or_b32 v8, 0x1ff, v9, v8
	v_cndmask_b32_e64 v13, v17, v13, s0
	v_cmp_eq_u32_e64 s0, 0x40f, v16
	v_mul_f64 v[6:7], v[6:7], s[4:5]
	v_cmp_ne_u32_e64 s2, 0, v8
	v_lshrrev_b32_e32 v8, 8, v9
	v_bfe_u32 v16, v9, 20, 11
	v_cndmask_b32_e64 v1, v1, v10, s0
	v_lshrrev_b32_e32 v10, 16, v11
	v_and_b32_e32 v11, 7, v13
	v_lshrrev_b32_e32 v13, 2, v13
	v_and_or_b32 v1, 0x8000, v10, v1
	v_cmp_lt_i32_e64 s0, 5, v11
	v_cmp_eq_u32_e64 s1, 3, v11
	ds_read2_b32 v[10:11], v3 offset0:75 offset1:185
	v_cndmask_b32_e64 v3, 0, 1, s2
	v_and_b32_e32 v1, 0xffff, v1
	s_mul_hi_u32 s2, s8, 0x25d
	s_or_b32 s0, s1, s0
	s_mul_i32 s1, s9, 0x25d
	v_add_co_ci_u32_e64 v13, s0, 0, v13, s0
	v_cmp_ne_u32_e64 s0, 0, v14
	v_and_or_b32 v3, 0xffe, v8, v3
	v_sub_nc_u32_e32 v8, 0x3f1, v16
	v_and_or_b32 v6, 0x1ff, v7, v6
	v_lshrrev_b32_e32 v18, 8, v7
	v_cndmask_b32_e64 v14, 0, 1, s0
	v_cmp_gt_i32_e64 s0, 31, v12
	v_or_b32_e32 v17, 0x1000, v3
	v_med3_i32 v8, v8, 0, 13
	v_bfe_u32 v24, v7, 20, 11
	v_lshl_or_b32 v14, v14, 9, 0x7c00
	v_cndmask_b32_e64 v13, 0x7c00, v13, s0
	v_cmp_eq_u32_e64 s0, 0x40f, v12
	v_add_nc_u32_e32 v16, 0xfffffc10, v16
	s_add_i32 s7, s2, s1
	v_lshrrev_b32_e32 v7, 16, v7
	s_lshl_b64 s[10:11], s[6:7], 2
	v_cndmask_b32_e64 v12, v13, v14, s0
	v_lshrrev_b32_e32 v13, 16, v15
	v_lshrrev_b32_e32 v15, v8, v17
	v_cmp_ne_u32_e64 s0, 0, v6
	s_waitcnt lgkmcnt(0)
	v_lshrrev_b32_e32 v14, 16, v10
	v_and_or_b32 v25, 0x8000, v13, v12
	v_lshlrev_b32_e32 v8, v8, v15
	v_cndmask_b32_e64 v6, 0, 1, s0
	v_mul_f16_sdwa v19, v50, v14 dst_sel:DWORD dst_unused:UNUSED_PAD src0_sel:WORD_1 src1_sel:DWORD
	v_sub_nc_u32_e32 v12, 0x3f1, v24
	v_cmp_ne_u32_e64 s0, v8, v17
	v_and_or_b32 v6, 0xffe, v18, v6
	v_fmac_f16_e32 v19, v50, v10
	v_med3_i32 v18, v12, 0, 13
	v_mul_f16_sdwa v10, v50, v10 dst_sel:DWORD dst_unused:UNUSED_PAD src0_sel:WORD_1 src1_sel:DWORD
	v_cndmask_b32_e64 v8, 0, 1, s0
	v_or_b32_e32 v17, 0x1000, v6
	v_cvt_f32_f16_e32 v13, v19
	v_cmp_gt_i32_e64 s0, 1, v16
	v_fma_f16 v10, v50, v14, -v10
	v_or_b32_e32 v8, v15, v8
	v_lshl_or_b32 v15, v16, 12, v3
	v_lshrrev_b32_e32 v19, v18, v17
	v_cvt_f64_f32_e32 v[12:13], v13
	v_cndmask_b32_e64 v8, v15, v8, s0
	v_lshlrev_b32_e32 v15, v18, v19
	v_lshl_or_b32 v18, v25, 16, v1
	v_and_b32_e32 v1, 7, v8
	v_cmp_ne_u32_e64 s0, v15, v17
	v_add_nc_u32_e32 v17, 0xfffffc10, v24
	v_lshrrev_b32_e32 v8, 2, v8
	v_cmp_eq_u32_e64 s1, 3, v1
	v_cndmask_b32_e64 v15, 0, 1, s0
	v_cmp_lt_i32_e64 s0, 5, v1
	v_cmp_gt_i32_e64 s2, 1, v17
	v_or_b32_e32 v1, v19, v15
	v_lshl_or_b32 v15, v17, 12, v6
	s_or_b32 s0, s1, s0
	v_mul_f64 v[12:13], v[12:13], s[4:5]
	v_add_co_ci_u32_e64 v8, s0, 0, v8, s0
	v_cndmask_b32_e64 v19, v15, v1, s2
	v_cvt_f32_f16_e32 v1, v10
	v_cmp_ne_u32_e64 s0, 0, v3
	v_cmp_eq_u32_e64 s2, 0x40f, v16
	v_cvt_f64_f32_e32 v[14:15], v1
	v_cndmask_b32_e64 v3, 0, 1, s0
	v_cmp_gt_i32_e64 s0, 31, v16
	v_and_b32_e32 v1, 7, v19
	v_lshrrev_b32_e32 v16, 16, v9
	v_lshl_or_b32 v3, v3, 9, 0x7c00
	v_cndmask_b32_e64 v8, 0x7c00, v8, s0
	v_cmp_lt_i32_e64 s0, 5, v1
	v_cmp_eq_u32_e64 s1, 3, v1
	ds_read2_b32 v[1:2], v2 offset0:92 offset1:202
	v_cndmask_b32_e64 v10, v8, v3, s2
	v_lshrrev_b32_e32 v3, 2, v19
	s_or_b32 s0, s1, s0
	v_and_or_b32 v8, 0x1ff, v13, v12
	v_lshrrev_b32_e32 v19, 8, v13
	v_and_or_b32 v10, 0x8000, v16, v10
	v_add_co_ci_u32_e64 v3, s0, 0, v3, s0
	v_cmp_ne_u32_e64 s0, 0, v6
	s_mul_hi_u32 s2, s8, 0xfffffe11
	s_mul_i32 s1, s9, 0xfffffe11
	v_and_b32_e32 v10, 0xffff, v10
	v_cndmask_b32_e64 v6, 0, 1, s0
	v_cmp_ne_u32_e64 s0, 0, v8
	v_mul_f64 v[8:9], v[14:15], s[4:5]
	v_bfe_u32 v14, v13, 20, 11
	v_lshl_or_b32 v6, v6, 9, 0x7c00
	v_cndmask_b32_e64 v12, 0, 1, s0
	v_cmp_gt_i32_e64 s0, 31, v17
	v_sub_nc_u32_e32 v15, 0x3f1, v14
	v_and_or_b32 v12, 0xffe, v19, v12
	v_cndmask_b32_e64 v3, 0x7c00, v3, s0
	v_cmp_eq_u32_e64 s0, 0x40f, v17
	s_waitcnt lgkmcnt(0)
	v_lshrrev_b32_e32 v19, 16, v1
	v_med3_i32 v15, v15, 0, 13
	v_or_b32_e32 v17, 0x1000, v12
	v_cndmask_b32_e64 v6, v3, v6, s0
	v_add_co_u32 v3, s0, v4, s10
	v_mul_f16_sdwa v24, v49, v19 dst_sel:DWORD dst_unused:UNUSED_PAD src0_sel:WORD_1 src1_sel:DWORD
	v_add_co_ci_u32_e64 v4, s0, s11, v5, s0
	v_lshrrev_b32_e32 v16, v15, v17
	v_and_or_b32 v5, 0x1ff, v9, v8
	v_fmac_f16_e32 v24, v49, v1
	v_and_or_b32 v7, 0x8000, v7, v6
	v_bfe_u32 v25, v9, 20, 11
	v_lshlrev_b32_e32 v8, v15, v16
	v_cmp_ne_u32_e64 s0, 0, v5
	v_cvt_f32_f16_e32 v6, v24
	v_lshrrev_b32_e32 v24, 8, v9
	v_mul_f16_sdwa v1, v49, v1 dst_sel:DWORD dst_unused:UNUSED_PAD src0_sel:WORD_1 src1_sel:DWORD
	v_lshl_or_b32 v27, v7, 16, v10
	v_cndmask_b32_e64 v15, 0, 1, s0
	v_cmp_ne_u32_e64 s0, v8, v17
	v_cvt_f64_f32_e32 v[5:6], v6
	v_add_nc_u32_e32 v17, 0xfffffc10, v14
	v_sub_nc_u32_e32 v14, 0x3f1, v25
	v_and_or_b32 v24, 0xffe, v24, v15
	v_cndmask_b32_e64 v8, 0, 1, s0
	s_sub_i32 s0, s2, s8
	v_lshl_or_b32 v15, v17, 12, v12
	v_med3_i32 v14, v14, 0, 13
	s_add_i32 s1, s0, s1
	v_or_b32_e32 v8, v16, v8
	v_or_b32_e32 v16, 0x1000, v24
	v_cmp_gt_i32_e64 s0, 1, v17
	v_fma_f16 v1, v49, v19, -v1
	v_lshrrev_b32_e32 v26, v14, v16
	v_cndmask_b32_e64 v15, v15, v8, s0
	s_mul_i32 s0, s8, 0xfffffe11
	v_cvt_f32_f16_e32 v1, v1
	s_lshl_b64 s[8:9], s[0:1], 2
	v_lshlrev_b32_e32 v14, v14, v26
	v_and_b32_e32 v10, 7, v15
	v_mul_f64 v[5:6], v[5:6], s[4:5]
	v_add_co_u32 v7, s0, v3, s8
	v_cmp_ne_u32_e64 s1, v14, v16
	v_add_co_ci_u32_e64 v8, s0, s9, v4, s0
	v_cmp_lt_i32_e64 s0, 5, v10
	v_add_nc_u32_e32 v16, 0xfffffc10, v25
	v_cndmask_b32_e64 v14, 0, 1, s1
	v_cmp_eq_u32_e64 s1, 3, v10
	v_lshrrev_b32_e32 v10, 2, v15
	global_store_dword v[3:4], v18, off
	global_store_dword v[7:8], v27, off
	v_lshl_or_b32 v25, v16, 12, v24
	v_or_b32_e32 v19, v26, v14
	s_or_b32 s0, s1, s0
	v_cvt_f64_f32_e32 v[14:15], v1
	v_add_co_ci_u32_e64 v1, s0, 0, v10, s0
	v_cmp_ne_u32_e64 s0, 0, v12
	v_and_or_b32 v5, 0x1ff, v6, v5
	v_cndmask_b32_e64 v10, 0, 1, s0
	v_cmp_gt_i32_e64 s0, 1, v16
	v_lshrrev_b32_e32 v12, 8, v6
	v_bfe_u32 v26, v6, 20, 11
	v_lshl_or_b32 v10, v10, 9, 0x7c00
	v_cndmask_b32_e64 v19, v25, v19, s0
	v_cmp_gt_i32_e64 s0, 31, v17
	v_and_b32_e32 v25, 7, v19
	v_cndmask_b32_e64 v1, 0x7c00, v1, s0
	v_cmp_ne_u32_e64 s0, 0, v5
	v_cmp_eq_u32_e64 s1, 3, v25
	v_cndmask_b32_e64 v5, 0, 1, s0
	v_cmp_eq_u32_e64 s0, 0x40f, v17
	v_sub_nc_u32_e32 v17, 0x3f1, v26
	v_and_or_b32 v5, 0xffe, v12, v5
	v_cndmask_b32_e64 v1, v1, v10, s0
	v_cmp_lt_i32_e64 s0, 5, v25
	v_lshrrev_b32_e32 v10, 16, v13
	v_mul_f64 v[12:13], v[14:15], s[4:5]
	v_lshrrev_b32_e32 v15, 2, v19
	v_or_b32_e32 v19, 0x1000, v5
	s_or_b32 s0, s1, s0
	v_med3_i32 v17, v17, 0, 13
	v_lshrrev_b32_e32 v14, 16, v11
	v_add_co_ci_u32_e64 v15, s0, 0, v15, s0
	v_cmp_ne_u32_e64 s0, 0, v24
	v_lshrrev_b32_e32 v28, v17, v19
	v_mul_f16_sdwa v25, v48, v14 dst_sel:DWORD dst_unused:UNUSED_PAD src0_sel:WORD_1 src1_sel:DWORD
	v_and_or_b32 v1, 0x8000, v10, v1
	v_cndmask_b32_e64 v24, 0, 1, s0
	v_cmp_gt_i32_e64 s0, 31, v16
	v_lshlrev_b32_e32 v17, v17, v28
	v_fmac_f16_e32 v25, v48, v11
	v_and_b32_e32 v1, 0xffff, v1
	v_lshl_or_b32 v24, v24, 9, 0x7c00
	v_cndmask_b32_e64 v15, 0x7c00, v15, s0
	v_cmp_eq_u32_e64 s0, 0x40f, v16
	v_cvt_f32_f16_e32 v10, v25
	v_and_or_b32 v12, 0x1ff, v13, v12
	v_lshrrev_b32_e32 v16, 16, v9
	v_bfe_u32 v25, v13, 20, 11
	v_cndmask_b32_e64 v15, v15, v24, s0
	v_cmp_ne_u32_e64 s0, v17, v19
	v_cvt_f64_f32_e32 v[9:10], v10
	v_add_nc_u32_e32 v19, 0xfffffc10, v26
	v_lshrrev_b32_e32 v24, 8, v13
	v_and_or_b32 v15, 0x8000, v16, v15
	v_cndmask_b32_e64 v17, 0, 1, s0
	v_cmp_ne_u32_e64 s0, 0, v12
	v_lshl_or_b32 v1, v15, 16, v1
	v_or_b32_e32 v16, v28, v17
	v_cndmask_b32_e64 v12, 0, 1, s0
	v_lshl_or_b32 v17, v19, 12, v5
	v_cmp_gt_i32_e64 s0, 1, v19
	v_and_or_b32 v12, 0xffe, v24, v12
	v_sub_nc_u32_e32 v24, 0x3f1, v25
	v_cndmask_b32_e64 v16, v17, v16, s0
	v_add_co_u32 v7, s0, v7, s10
	v_or_b32_e32 v17, 0x1000, v12
	v_med3_i32 v24, v24, 0, 13
	v_and_b32_e32 v15, 7, v16
	v_mul_f64 v[3:4], v[9:10], s[4:5]
	v_add_co_ci_u32_e64 v8, s0, s11, v8, s0
	v_lshrrev_b32_e32 v18, v24, v17
	v_cmp_lt_i32_e64 s0, 5, v15
	v_cmp_eq_u32_e64 s1, 3, v15
	v_mul_f16_sdwa v10, v48, v11 dst_sel:DWORD dst_unused:UNUSED_PAD src0_sel:WORD_1 src1_sel:DWORD
	v_lshrrev_b32_e32 v11, 2, v16
	v_lshlrev_b32_e32 v9, v24, v18
	v_lshrrev_b32_e32 v24, 16, v2
	s_or_b32 s0, s1, s0
	v_fma_f16 v10, v48, v14, -v10
	v_add_co_ci_u32_e64 v11, s0, 0, v11, s0
	v_cmp_ne_u32_e64 s2, v9, v17
	v_add_nc_u32_e32 v14, 0xfffffc10, v25
	v_cmp_ne_u32_e64 s0, 0, v5
	v_cvt_f32_f16_e32 v10, v10
	global_store_dword v[7:8], v1, off
	v_cndmask_b32_e64 v9, 0, 1, s2
	v_lshl_or_b32 v16, v14, 12, v12
	v_cndmask_b32_e64 v5, 0, 1, s0
	v_cmp_gt_i32_e64 s0, 1, v14
	v_and_or_b32 v3, 0x1ff, v4, v3
	v_or_b32_e32 v15, v18, v9
	v_cvt_f64_f32_e32 v[9:10], v10
	v_lshl_or_b32 v5, v5, 9, 0x7c00
	v_bfe_u32 v18, v4, 20, 11
	v_lshrrev_b32_e32 v17, 8, v4
	v_cndmask_b32_e64 v15, v16, v15, s0
	v_cmp_gt_i32_e64 s0, 31, v19
	v_and_b32_e32 v16, 7, v15
	v_cndmask_b32_e64 v11, 0x7c00, v11, s0
	v_cmp_ne_u32_e64 s0, 0, v3
	v_lshrrev_b32_e32 v15, 2, v15
	v_cmp_eq_u32_e64 s1, 3, v16
	v_cndmask_b32_e64 v3, 0, 1, s0
	v_cmp_eq_u32_e64 s0, 0x40f, v19
	v_lshrrev_b32_e32 v19, 16, v6
	v_and_or_b32 v3, 0xffe, v17, v3
	v_cndmask_b32_e64 v11, v11, v5, s0
	v_sub_nc_u32_e32 v5, 0x3f1, v18
	v_cmp_lt_i32_e64 s0, 5, v16
	v_or_b32_e32 v16, 0x1000, v3
	v_and_or_b32 v11, 0x8000, v19, v11
	v_med3_i32 v17, v5, 0, 13
	v_mul_f64 v[5:6], v[9:10], s[4:5]
	s_or_b32 s0, s1, s0
	v_add_co_ci_u32_e64 v9, s0, 0, v15, s0
	v_cmp_ne_u32_e64 s0, 0, v12
	v_lshrrev_b32_e32 v12, v17, v16
	v_mul_f16_sdwa v15, v47, v24 dst_sel:DWORD dst_unused:UNUSED_PAD src0_sel:WORD_1 src1_sel:DWORD
	v_and_b32_e32 v11, 0xffff, v11
	v_cndmask_b32_e64 v10, 0, 1, s0
	v_cmp_gt_i32_e64 s0, 31, v14
	v_lshlrev_b32_e32 v17, v17, v12
	v_fmac_f16_e32 v15, v47, v2
	v_mul_f16_sdwa v2, v47, v2 dst_sel:DWORD dst_unused:UNUSED_PAD src0_sel:WORD_1 src1_sel:DWORD
	v_lshl_or_b32 v10, v10, 9, 0x7c00
	v_cndmask_b32_e64 v9, 0x7c00, v9, s0
	v_cmp_eq_u32_e64 s0, 0x40f, v14
	v_fma_f16 v2, v47, v24, -v2
	v_cndmask_b32_e64 v9, v9, v10, s0
	v_cmp_ne_u32_e64 s0, v17, v16
	v_and_or_b32 v5, 0x1ff, v6, v5
	v_lshrrev_b32_e32 v10, 16, v13
	v_cvt_f32_f16_e32 v13, v15
	v_add_nc_u32_e32 v15, 0xfffffc10, v18
	v_cndmask_b32_e64 v14, 0, 1, s0
	v_cmp_ne_u32_e64 s0, 0, v5
	v_and_or_b32 v16, 0x8000, v10, v9
	v_cvt_f64_f32_e32 v[9:10], v13
	v_lshl_or_b32 v13, v15, 12, v3
	v_or_b32_e32 v12, v12, v14
	v_cndmask_b32_e64 v5, 0, 1, s0
	v_lshrrev_b32_e32 v14, 8, v6
	v_bfe_u32 v17, v6, 20, 11
	v_cmp_gt_i32_e64 s0, 1, v15
	v_lshl_or_b32 v1, v16, 16, v11
	v_lshrrev_b32_e32 v6, 16, v6
	v_and_or_b32 v5, 0xffe, v14, v5
	v_cndmask_b32_e64 v12, v13, v12, s0
	v_sub_nc_u32_e32 v13, 0x3f1, v17
	v_add_co_u32 v7, s0, v7, s8
	v_or_b32_e32 v14, 0x1000, v5
	v_and_b32_e32 v11, 7, v12
	v_med3_i32 v13, v13, 0, 13
	v_add_co_ci_u32_e64 v8, s0, s9, v8, s0
	v_add_nc_u32_e32 v17, 0xfffffc10, v17
	v_cmp_lt_i32_e64 s0, 5, v11
	v_lshrrev_b32_e32 v16, v13, v14
	v_cmp_eq_u32_e64 s1, 3, v11
	v_mul_f64 v[9:10], v[9:10], s[4:5]
	global_store_dword v[7:8], v1, off
	v_lshrrev_b32_e32 v1, 2, v12
	v_lshlrev_b32_e32 v11, v13, v16
	s_or_b32 s0, s1, s0
	v_add_co_u32 v7, s2, v7, s10
	v_add_co_ci_u32_e64 v13, s0, 0, v1, s0
	v_cmp_ne_u32_e64 s0, v11, v14
	v_add_nc_u32_e32 v1, 0xe00, v43
	v_cvt_f32_f16_e32 v11, v2
	v_add_co_ci_u32_e64 v8, s2, s11, v8, s2
	v_cndmask_b32_e64 v14, 0, 1, s0
	v_cmp_ne_u32_e64 s0, 0, v3
	ds_read2_b32 v[1:2], v1 offset0:39 offset1:149
	v_cvt_f64_f32_e32 v[11:12], v11
	v_or_b32_e32 v14, v16, v14
	v_cndmask_b32_e64 v3, 0, 1, s0
	v_cmp_gt_i32_e64 s0, 31, v15
	v_lshl_or_b32 v16, v17, 12, v5
	v_and_or_b32 v9, 0x1ff, v10, v9
	v_bfe_u32 v18, v10, 20, 11
	v_lshl_or_b32 v3, v3, 9, 0x7c00
	v_cndmask_b32_e64 v13, 0x7c00, v13, s0
	v_cmp_gt_i32_e64 s0, 1, v17
	v_sub_nc_u32_e32 v19, 0x3f1, v18
	v_add_nc_u32_e32 v18, 0xfffffc10, v18
	v_cndmask_b32_e64 v14, v16, v14, s0
	v_cmp_ne_u32_e64 s0, 0, v9
	v_lshrrev_b32_e32 v16, 8, v10
	v_lshrrev_b32_e32 v10, 16, v10
	s_waitcnt lgkmcnt(0)
	v_lshrrev_b32_e32 v24, 16, v1
	v_cndmask_b32_e64 v9, 0, 1, s0
	v_cmp_eq_u32_e64 s0, 0x40f, v15
	v_and_b32_e32 v15, 7, v14
	v_lshrrev_b32_e32 v14, 2, v14
	v_and_or_b32 v9, 0xffe, v16, v9
	v_cndmask_b32_e64 v13, v13, v3, s0
	v_cmp_lt_i32_e64 s0, 5, v15
	v_cmp_eq_u32_e64 s1, 3, v15
	v_lshrrev_b32_e32 v16, 16, v4
	v_mul_f64 v[3:4], v[11:12], s[4:5]
	v_or_b32_e32 v25, 0x1000, v9
	v_med3_i32 v11, v19, 0, 13
	v_mul_f16_sdwa v12, v46, v24 dst_sel:DWORD dst_unused:UNUSED_PAD src0_sel:WORD_1 src1_sel:DWORD
	s_or_b32 s0, s1, s0
	v_and_or_b32 v13, 0x8000, v16, v13
	v_add_co_ci_u32_e64 v14, s0, 0, v14, s0
	v_lshrrev_b32_e32 v15, v11, v25
	v_cmp_ne_u32_e64 s0, 0, v5
	v_fmac_f16_e32 v12, v46, v1
	v_and_b32_e32 v13, 0xffff, v13
	v_mul_f16_sdwa v1, v46, v1 dst_sel:DWORD dst_unused:UNUSED_PAD src0_sel:WORD_1 src1_sel:DWORD
	v_lshlrev_b32_e32 v16, v11, v15
	v_cndmask_b32_e64 v5, 0, 1, s0
	v_cmp_gt_i32_e64 s0, 31, v17
	v_cvt_f32_f16_e32 v12, v12
	v_fma_f16 v1, v46, v24, -v1
	v_lshl_or_b32 v5, v5, 9, 0x7c00
	v_cndmask_b32_e64 v14, 0x7c00, v14, s0
	v_cmp_ne_u32_e64 s0, v16, v25
	v_cvt_f64_f32_e32 v[11:12], v12
	v_and_or_b32 v3, 0x1ff, v4, v3
	v_cvt_f32_f16_e32 v1, v1
	v_cndmask_b32_e64 v16, 0, 1, s0
	v_cmp_eq_u32_e64 s0, 0x40f, v17
	v_bfe_u32 v17, v4, 20, 11
	v_cndmask_b32_e64 v5, v14, v5, s0
	v_cmp_ne_u32_e64 s0, 0, v3
	v_or_b32_e32 v14, v15, v16
	v_lshrrev_b32_e32 v16, 8, v4
	v_lshl_or_b32 v15, v18, 12, v9
	v_cndmask_b32_e64 v3, 0, 1, s0
	v_cmp_gt_i32_e64 s0, 1, v18
	v_and_or_b32 v3, 0xffe, v16, v3
	v_sub_nc_u32_e32 v16, 0x3f1, v17
	v_cndmask_b32_e64 v14, v15, v14, s0
	v_and_or_b32 v15, 0x8000, v6, v5
	v_mul_f64 v[5:6], v[11:12], s[4:5]
	v_or_b32_e32 v25, 0x1000, v3
	v_med3_i32 v11, v16, 0, 13
	v_and_b32_e32 v19, 7, v14
	v_lshl_or_b32 v13, v15, 16, v13
	v_lshrrev_b32_e32 v12, 2, v14
	v_lshrrev_b32_e32 v15, v11, v25
	v_cmp_lt_i32_e64 s0, 5, v19
	v_cmp_eq_u32_e64 s1, 3, v19
	v_lshlrev_b32_e32 v11, v11, v15
	s_or_b32 s0, s1, s0
	v_add_co_ci_u32_e64 v14, s0, 0, v12, s0
	v_cmp_ne_u32_e64 s0, v11, v25
	v_cvt_f64_f32_e32 v[11:12], v1
	v_add_nc_u32_e32 v1, 0xfffffc10, v17
	v_and_or_b32 v5, 0x1ff, v6, v5
	v_cndmask_b32_e64 v16, 0, 1, s0
	v_cmp_gt_i32_e64 s0, 31, v18
	v_lshrrev_b32_e32 v17, 8, v6
	v_bfe_u32 v19, v6, 20, 11
	v_or_b32_e32 v15, v15, v16
	v_cndmask_b32_e64 v14, 0x7c00, v14, s0
	v_cmp_ne_u32_e64 s0, 0, v5
	v_lshl_or_b32 v16, v1, 12, v3
	v_cndmask_b32_e64 v5, 0, 1, s0
	v_cmp_ne_u32_e64 s0, 0, v9
	v_and_or_b32 v5, 0xffe, v17, v5
	v_cndmask_b32_e64 v9, 0, 1, s0
	v_cmp_gt_i32_e64 s0, 1, v1
	v_lshrrev_b32_e32 v17, 16, v0
	v_mul_f64 v[11:12], v[11:12], s[4:5]
	v_or_b32_e32 v25, 0x1000, v5
	v_lshl_or_b32 v9, v9, 9, 0x7c00
	v_cndmask_b32_e64 v15, v16, v15, s0
	v_sub_nc_u32_e32 v16, 0x3f1, v19
	v_cmp_eq_u32_e64 s0, 0x40f, v18
	v_mul_f16_sdwa v26, v45, v17 dst_sel:DWORD dst_unused:UNUSED_PAD src0_sel:WORD_1 src1_sel:DWORD
	v_add_nc_u32_e32 v19, 0xfffffc10, v19
	v_and_b32_e32 v24, 7, v15
	v_med3_i32 v16, v16, 0, 13
	v_cndmask_b32_e64 v9, v14, v9, s0
	v_fmac_f16_e32 v26, v45, v0
	v_mul_f16_sdwa v0, v45, v0 dst_sel:DWORD dst_unused:UNUSED_PAD src0_sel:WORD_1 src1_sel:DWORD
	v_cmp_lt_i32_e64 s0, 5, v24
	v_lshrrev_b32_e32 v14, v16, v25
	v_cmp_eq_u32_e64 s1, 3, v24
	v_and_or_b32 v18, 0x8000, v10, v9
	v_lshrrev_b32_e32 v9, 2, v15
	v_cvt_f32_f16_e32 v15, v26
	v_lshlrev_b32_e32 v10, v16, v14
	s_or_b32 s0, s1, s0
	v_fma_f16 v0, v45, v17, -v0
	v_add_co_ci_u32_e64 v16, s0, 0, v9, s0
	v_cmp_ne_u32_e64 s0, v10, v25
	v_cvt_f64_f32_e32 v[9:10], v15
	v_lshl_or_b32 v15, v19, 12, v5
	v_and_or_b32 v11, 0x1ff, v12, v11
	v_cvt_f32_f16_e32 v0, v0
	v_cndmask_b32_e64 v24, 0, 1, s0
	v_cmp_ne_u32_e64 s0, 0, v3
	v_or_b32_e32 v14, v14, v24
	v_cndmask_b32_e64 v3, 0, 1, s0
	v_cmp_gt_i32_e64 s0, 31, v1
	v_bfe_u32 v24, v12, 20, 11
	v_lshl_or_b32 v3, v3, 9, 0x7c00
	v_cndmask_b32_e64 v16, 0x7c00, v16, s0
	v_cmp_gt_i32_e64 s0, 1, v19
	v_cndmask_b32_e64 v14, v15, v14, s0
	v_cmp_ne_u32_e64 s0, 0, v11
	v_lshrrev_b32_e32 v15, 8, v12
	v_lshrrev_b32_e32 v12, 16, v12
	v_and_b32_e32 v25, 7, v14
	v_cndmask_b32_e64 v11, 0, 1, s0
	v_cmp_eq_u32_e64 s0, 0x40f, v1
	v_lshrrev_b32_e32 v14, 2, v14
	v_cmp_eq_u32_e64 s1, 3, v25
	v_and_or_b32 v11, 0xffe, v15, v11
	v_sub_nc_u32_e32 v15, 0x3f1, v24
	v_cndmask_b32_e64 v1, v16, v3, s0
	v_cmp_lt_i32_e64 s0, 5, v25
	v_lshrrev_b32_e32 v16, 16, v4
	v_mul_f64 v[3:4], v[9:10], s[4:5]
	v_or_b32_e32 v9, 0x1000, v11
	v_med3_i32 v10, v15, 0, 13
	s_or_b32 s0, s1, s0
	v_and_or_b32 v1, 0x8000, v16, v1
	v_add_co_ci_u32_e64 v14, s0, 0, v14, s0
	v_and_b32_e32 v15, 0xffff, v18
	v_lshrrev_b32_e32 v16, v10, v9
	v_cmp_ne_u32_e64 s0, 0, v5
	v_lshrrev_b32_e32 v18, 16, v2
	v_lshl_or_b32 v15, v1, 16, v15
	v_lshlrev_b32_e32 v1, v10, v16
	v_cndmask_b32_e64 v5, 0, 1, s0
	v_cmp_gt_i32_e64 s0, 31, v19
	v_mul_f16_sdwa v26, v44, v18 dst_sel:DWORD dst_unused:UNUSED_PAD src0_sel:WORD_1 src1_sel:DWORD
	v_lshl_or_b32 v5, v5, 9, 0x7c00
	v_cndmask_b32_e64 v10, 0x7c00, v14, s0
	v_cmp_ne_u32_e64 s0, v1, v9
	v_and_or_b32 v3, 0x1ff, v4, v3
	v_add_nc_u32_e32 v14, 0xfffffc10, v24
	v_bfe_u32 v17, v4, 20, 11
	v_fmac_f16_e32 v26, v44, v2
	v_cndmask_b32_e64 v1, 0, 1, s0
	v_cmp_eq_u32_e64 s0, 0x40f, v19
	v_lshrrev_b32_e32 v19, 16, v6
	v_mul_f16_sdwa v2, v44, v2 dst_sel:DWORD dst_unused:UNUSED_PAD src0_sel:WORD_1 src1_sel:DWORD
	v_cndmask_b32_e64 v9, v10, v5, s0
	v_cmp_ne_u32_e64 s0, 0, v3
	v_or_b32_e32 v5, v16, v1
	v_lshrrev_b32_e32 v16, 8, v4
	v_lshl_or_b32 v10, v14, 12, v11
	v_cvt_f64_f32_e32 v[0:1], v0
	v_cndmask_b32_e64 v3, 0, 1, s0
	v_cmp_gt_i32_e64 s0, 1, v14
	v_and_or_b32 v19, 0x8000, v19, v9
	v_fma_f16 v2, v44, v18, -v2
	v_lshrrev_b32_e32 v4, 16, v4
	v_and_or_b32 v16, 0xffe, v16, v3
	v_sub_nc_u32_e32 v3, 0x3f1, v17
	v_cndmask_b32_e64 v10, v10, v5, s0
	v_add_co_u32 v5, s0, v7, s8
	v_or_b32_e32 v25, 0x1000, v16
	v_med3_i32 v3, v3, 0, 13
	v_and_b32_e32 v24, 7, v10
	v_add_co_ci_u32_e64 v6, s0, s9, v8, s0
	v_lshrrev_b32_e32 v9, 2, v10
	v_lshrrev_b32_e32 v27, v3, v25
	v_cmp_lt_i32_e64 s0, 5, v24
	v_cmp_eq_u32_e64 s1, 3, v24
	v_cvt_f32_f16_e32 v10, v26
	v_add_nc_u32_e32 v17, 0xfffffc10, v17
	v_lshlrev_b32_e32 v3, v3, v27
	v_mul_f64 v[0:1], v[0:1], s[4:5]
	s_or_b32 s0, s1, s0
	v_cvt_f32_f16_e32 v2, v2
	v_add_co_ci_u32_e64 v24, s0, 0, v9, s0
	v_cmp_ne_u32_e64 s0, v3, v25
	v_cvt_f64_f32_e32 v[9:10], v10
	v_lshl_or_b32 v25, v17, 12, v16
	v_cndmask_b32_e64 v3, 0, 1, s0
	v_cmp_ne_u32_e64 s0, 0, v11
	v_or_b32_e32 v3, v27, v3
	v_cndmask_b32_e64 v11, 0, 1, s0
	v_cmp_gt_i32_e64 s0, 31, v14
	v_lshl_or_b32 v11, v11, 9, 0x7c00
	v_cndmask_b32_e64 v18, 0x7c00, v24, s0
	v_cmp_gt_i32_e64 s0, 1, v17
	v_and_or_b32 v0, 0x1ff, v1, v0
	v_cndmask_b32_e64 v24, v25, v3, s0
	v_cmp_eq_u32_e64 s0, 0x40f, v14
	v_mul_f64 v[9:10], v[9:10], s[4:5]
	v_cvt_f64_f32_e32 v[2:3], v2
	v_bfe_u32 v25, v1, 20, 11
	v_and_b32_e32 v14, 7, v24
	v_cndmask_b32_e64 v11, v18, v11, s0
	v_cmp_ne_u32_e64 s0, 0, v0
	v_lshrrev_b32_e32 v18, 8, v1
	v_lshrrev_b32_e32 v1, 16, v1
	v_cmp_eq_u32_e64 s1, 3, v14
	v_and_or_b32 v11, 0x8000, v12, v11
	v_and_b32_e32 v12, 0xffff, v19
	v_cndmask_b32_e64 v0, 0, 1, s0
	v_cmp_lt_i32_e64 s0, 5, v14
	v_lshl_or_b32 v11, v11, 16, v12
	v_lshrrev_b32_e32 v12, 2, v24
	v_and_or_b32 v0, 0xffe, v18, v0
	v_sub_nc_u32_e32 v18, 0x3f1, v25
	s_or_b32 s0, s1, s0
	v_add_co_ci_u32_e64 v12, s0, 0, v12, s0
	v_or_b32_e32 v14, 0x1000, v0
	v_med3_i32 v18, v18, 0, 13
	v_cmp_ne_u32_e64 s0, 0, v16
	v_and_or_b32 v9, 0x1ff, v10, v9
	v_mul_f64 v[2:3], v[2:3], s[4:5]
	v_lshrrev_b32_e32 v24, 8, v10
	v_lshrrev_b32_e32 v19, v18, v14
	v_cndmask_b32_e64 v16, 0, 1, s0
	v_cmp_gt_i32_e64 s0, 31, v17
	v_bfe_u32 v26, v10, 20, 11
	v_lshrrev_b32_e32 v10, 16, v10
	v_lshlrev_b32_e32 v18, v18, v19
	v_lshl_or_b32 v16, v16, 9, 0x7c00
	v_cndmask_b32_e64 v12, 0x7c00, v12, s0
	v_cmp_ne_u32_e64 s0, 0, v9
	v_cndmask_b32_e64 v9, 0, 1, s0
	v_cmp_ne_u32_e64 s0, v18, v14
	v_add_nc_u32_e32 v18, 0xfffffc10, v25
	v_and_or_b32 v9, 0xffe, v24, v9
	v_cndmask_b32_e64 v14, 0, 1, s0
	v_sub_nc_u32_e32 v24, 0x3f1, v26
	v_cmp_eq_u32_e64 s0, 0x40f, v17
	v_and_or_b32 v2, 0x1ff, v3, v2
	v_or_b32_e32 v17, 0x1000, v9
	v_or_b32_e32 v14, v19, v14
	v_med3_i32 v19, v24, 0, 13
	v_cndmask_b32_e64 v12, v12, v16, s0
	v_lshl_or_b32 v16, v18, 12, v0
	v_cmp_gt_i32_e64 s0, 1, v18
	v_lshrrev_b32_e32 v24, 8, v3
	v_bfe_u32 v25, v3, 20, 11
	v_and_or_b32 v4, 0x8000, v4, v12
	v_cndmask_b32_e64 v14, v16, v14, s0
	v_lshrrev_b32_e32 v16, v19, v17
	v_cmp_ne_u32_e64 s0, 0, v2
	v_sub_nc_u32_e32 v12, 0x3f1, v25
	v_and_b32_e32 v27, 7, v14
	v_lshlrev_b32_e32 v19, v19, v16
	v_cndmask_b32_e64 v2, 0, 1, s0
	v_lshrrev_b32_e32 v14, 2, v14
	v_med3_i32 v12, v12, 0, 13
	v_cmp_lt_i32_e64 s0, 5, v27
	v_cmp_ne_u32_e64 s1, v19, v17
	v_and_or_b32 v2, 0xffe, v24, v2
	v_add_nc_u32_e32 v24, 0xfffffc10, v26
	v_cndmask_b32_e64 v17, 0, 1, s1
	v_cmp_eq_u32_e64 s1, 3, v27
	v_or_b32_e32 v19, 0x1000, v2
	v_lshl_or_b32 v26, v24, 12, v9
	v_or_b32_e32 v16, v16, v17
	s_or_b32 s0, s1, s0
	v_lshrrev_b32_e32 v17, v12, v19
	v_add_co_ci_u32_e64 v14, s0, 0, v14, s0
	v_cmp_gt_i32_e64 s0, 1, v24
	v_lshlrev_b32_e32 v12, v12, v17
	v_cndmask_b32_e64 v16, v26, v16, s0
	v_cmp_ne_u32_e64 s0, 0, v0
	v_cndmask_b32_e64 v0, 0, 1, s0
	v_cmp_ne_u32_e64 s0, v12, v19
	v_add_nc_u32_e32 v19, 0xfffffc10, v25
	v_and_b32_e32 v25, 7, v16
	v_lshl_or_b32 v0, v0, 9, 0x7c00
	v_cndmask_b32_e64 v12, 0, 1, s0
	v_cmp_gt_i32_e64 s0, 31, v18
	v_cmp_gt_i32_e64 s2, 1, v19
	v_cmp_eq_u32_e64 s1, 3, v25
	v_or_b32_e32 v12, v17, v12
	v_lshl_or_b32 v17, v19, 12, v2
	v_cndmask_b32_e64 v14, 0x7c00, v14, s0
	v_cmp_lt_i32_e64 s0, 5, v25
	v_cndmask_b32_e64 v12, v17, v12, s2
	v_cmp_eq_u32_e64 s2, 0x40f, v18
	s_or_b32 s0, s1, s0
	v_cndmask_b32_e64 v0, v14, v0, s2
	v_lshrrev_b32_e32 v14, 2, v16
	v_and_b32_e32 v16, 7, v12
	v_lshrrev_b32_e32 v12, 2, v12
	v_cmp_gt_i32_e64 s2, 31, v24
	v_and_or_b32 v0, 0x8000, v1, v0
	v_add_co_ci_u32_e64 v14, s0, 0, v14, s0
	v_cmp_ne_u32_e64 s0, 0, v9
	v_cmp_eq_u32_e64 s1, 3, v16
	v_and_b32_e32 v1, 0xffff, v4
	v_cndmask_b32_e64 v14, 0x7c00, v14, s2
	v_cndmask_b32_e64 v9, 0, 1, s0
	v_cmp_lt_i32_e64 s0, 5, v16
	v_lshl_or_b32 v9, v9, 9, 0x7c00
	s_or_b32 s0, s1, s0
	v_add_co_ci_u32_e64 v12, s0, 0, v12, s0
	v_cmp_ne_u32_e64 s0, 0, v2
	v_cndmask_b32_e64 v2, 0, 1, s0
	v_cmp_eq_u32_e64 s0, 0x40f, v24
	v_lshl_or_b32 v2, v2, 9, 0x7c00
	v_cndmask_b32_e64 v9, v14, v9, s0
	v_cmp_gt_i32_e64 s0, 31, v19
	v_and_or_b32 v4, 0x8000, v10, v9
	v_cndmask_b32_e64 v12, 0x7c00, v12, s0
	v_cmp_eq_u32_e64 s0, 0x40f, v19
	v_lshrrev_b32_e32 v10, 16, v3
	v_cndmask_b32_e64 v9, v12, v2, s0
	v_add_co_u32 v2, s0, v5, s10
	v_add_co_ci_u32_e64 v3, s0, s11, v6, s0
	v_lshl_or_b32 v12, v0, 16, v1
	v_and_or_b32 v0, 0x8000, v10, v9
	v_and_b32_e32 v1, 0xffff, v4
	v_add_co_u32 v9, s0, v2, s8
	v_add_co_ci_u32_e64 v10, s0, s9, v3, s0
	v_lshl_or_b32 v4, v0, 16, v1
	v_add_co_u32 v0, s0, v9, s10
	v_add_co_ci_u32_e64 v1, s0, s11, v10, s0
	global_store_dword v[7:8], v13, off
	global_store_dword v[5:6], v15, off
	;; [unrolled: 1-line block ×5, first 2 shown]
	s_and_b32 exec_lo, exec_lo, vcc_lo
	s_cbranch_execz .LBB0_23
; %bb.22:
	s_clause 0x1
	global_load_dword v2, v[20:21], off offset:152
	global_load_dword v4, v[22:23], off offset:524
	ds_read_b32 v3, v43 offset:2200
	ds_read_b32 v5, v43 offset:4620
	s_waitcnt lgkmcnt(1)
	v_lshrrev_b32_e32 v6, 16, v3
	s_waitcnt lgkmcnt(0)
	v_lshrrev_b32_e32 v8, 16, v5
	s_waitcnt vmcnt(1)
	v_mul_f16_sdwa v7, v6, v2 dst_sel:DWORD dst_unused:UNUSED_PAD src0_sel:DWORD src1_sel:WORD_1
	v_mul_f16_sdwa v9, v3, v2 dst_sel:DWORD dst_unused:UNUSED_PAD src0_sel:DWORD src1_sel:WORD_1
	s_waitcnt vmcnt(0)
	v_mul_f16_sdwa v10, v8, v4 dst_sel:DWORD dst_unused:UNUSED_PAD src0_sel:DWORD src1_sel:WORD_1
	v_fmac_f16_e32 v7, v3, v2
	v_fma_f16 v2, v2, v6, -v9
	v_mul_f16_sdwa v6, v5, v4 dst_sel:DWORD dst_unused:UNUSED_PAD src0_sel:DWORD src1_sel:WORD_1
	v_fmac_f16_e32 v10, v5, v4
	v_cvt_f32_f16_e32 v3, v7
	v_cvt_f32_f16_e32 v5, v2
	v_fma_f16 v6, v4, v8, -v6
	v_cvt_f32_f16_e32 v7, v10
	v_cvt_f64_f32_e32 v[2:3], v3
	v_cvt_f64_f32_e32 v[4:5], v5
	v_cvt_f32_f16_e32 v8, v6
	v_cvt_f64_f32_e32 v[6:7], v7
	v_cvt_f64_f32_e32 v[8:9], v8
	v_mul_f64 v[2:3], v[2:3], s[4:5]
	v_mul_f64 v[4:5], v[4:5], s[4:5]
	;; [unrolled: 1-line block ×4, first 2 shown]
	v_and_or_b32 v2, 0x1ff, v3, v2
	v_and_or_b32 v4, 0x1ff, v5, v4
	v_lshrrev_b32_e32 v10, 8, v3
	v_and_or_b32 v6, 0x1ff, v7, v6
	v_bfe_u32 v11, v3, 20, 11
	v_cmp_ne_u32_e32 vcc_lo, 0, v2
	v_lshrrev_b32_e32 v12, 8, v5
	v_and_or_b32 v8, 0x1ff, v9, v8
	v_bfe_u32 v13, v5, 20, 11
	v_lshrrev_b32_e32 v14, 8, v7
	v_cndmask_b32_e64 v2, 0, 1, vcc_lo
	v_cmp_ne_u32_e32 vcc_lo, 0, v4
	v_bfe_u32 v15, v7, 20, 11
	v_bfe_u32 v17, v9, 20, 11
	v_sub_nc_u32_e32 v18, 0x3f1, v11
	v_and_or_b32 v2, 0xffe, v10, v2
	v_cndmask_b32_e64 v4, 0, 1, vcc_lo
	v_cmp_ne_u32_e32 vcc_lo, 0, v6
	v_add_nc_u32_e32 v11, 0xfffffc10, v11
	v_sub_nc_u32_e32 v19, 0x3f1, v13
	v_lshrrev_b32_e32 v16, 8, v9
	v_and_or_b32 v4, 0xffe, v12, v4
	v_cndmask_b32_e64 v6, 0, 1, vcc_lo
	v_cmp_ne_u32_e32 vcc_lo, 0, v8
	v_add_nc_u32_e32 v13, 0xfffffc10, v13
	v_sub_nc_u32_e32 v20, 0x3f1, v15
	v_sub_nc_u32_e32 v21, 0x3f1, v17
	v_med3_i32 v10, v18, 0, 13
	v_cndmask_b32_e64 v8, 0, 1, vcc_lo
	v_cmp_ne_u32_e32 vcc_lo, 0, v2
	v_med3_i32 v12, v19, 0, 13
	v_and_or_b32 v6, 0xffe, v14, v6
	v_or_b32_e32 v18, 0x1000, v2
	v_lshl_or_b32 v19, v11, 12, v2
	v_cndmask_b32_e64 v2, 0, 1, vcc_lo
	v_cmp_ne_u32_e32 vcc_lo, 0, v4
	v_add_nc_u32_e32 v15, 0xfffffc10, v15
	v_med3_i32 v14, v20, 0, 13
	v_and_or_b32 v8, 0xffe, v16, v8
	v_med3_i32 v16, v21, 0, 13
	v_or_b32_e32 v20, 0x1000, v4
	v_lshl_or_b32 v21, v13, 12, v4
	v_cndmask_b32_e64 v4, 0, 1, vcc_lo
	v_cmp_ne_u32_e32 vcc_lo, 0, v6
	v_lshrrev_b32_e32 v26, v10, v18
	v_add_nc_u32_e32 v17, 0xfffffc10, v17
	v_or_b32_e32 v22, 0x1000, v6
	v_lshl_or_b32 v23, v15, 12, v6
	v_cndmask_b32_e64 v6, 0, 1, vcc_lo
	v_cmp_ne_u32_e32 vcc_lo, 0, v8
	v_lshrrev_b32_e32 v27, v12, v20
	v_lshlrev_b32_e32 v10, v10, v26
	v_or_b32_e32 v24, 0x1000, v8
	v_lshl_or_b32 v25, v17, 12, v8
	v_cndmask_b32_e64 v8, 0, 1, vcc_lo
	v_lshrrev_b32_e32 v28, v14, v22
	v_lshlrev_b32_e32 v12, v12, v27
	v_cmp_ne_u32_e32 vcc_lo, v10, v18
	v_lshrrev_b32_e32 v29, v16, v24
	v_lshl_or_b32 v2, v2, 9, 0x7c00
	v_lshlrev_b32_e32 v14, v14, v28
	v_lshl_or_b32 v6, v6, 9, 0x7c00
	v_cndmask_b32_e64 v10, 0, 1, vcc_lo
	v_cmp_ne_u32_e32 vcc_lo, v12, v20
	v_lshlrev_b32_e32 v16, v16, v29
	v_lshl_or_b32 v4, v4, 9, 0x7c00
	v_lshrrev_b32_e32 v3, 16, v3
	v_or_b32_e32 v10, v26, v10
	v_cndmask_b32_e64 v12, 0, 1, vcc_lo
	v_cmp_ne_u32_e32 vcc_lo, v14, v22
	v_lshrrev_b32_e32 v7, 16, v7
	v_lshl_or_b32 v8, v8, 9, 0x7c00
	v_lshrrev_b32_e32 v5, 16, v5
	v_or_b32_e32 v12, v27, v12
	v_cndmask_b32_e64 v14, 0, 1, vcc_lo
	v_cmp_ne_u32_e32 vcc_lo, v16, v24
	v_lshrrev_b32_e32 v9, 16, v9
	v_or_b32_e32 v14, v28, v14
	v_cndmask_b32_e64 v16, 0, 1, vcc_lo
	v_cmp_gt_i32_e32 vcc_lo, 1, v11
	v_or_b32_e32 v16, v29, v16
	v_cndmask_b32_e32 v10, v19, v10, vcc_lo
	v_cmp_gt_i32_e32 vcc_lo, 1, v13
	v_and_b32_e32 v18, 7, v10
	v_cndmask_b32_e32 v12, v21, v12, vcc_lo
	v_cmp_gt_i32_e32 vcc_lo, 1, v15
	v_lshrrev_b32_e32 v10, 2, v10
	v_cmp_eq_u32_e64 s0, 3, v18
	v_and_b32_e32 v19, 7, v12
	v_cndmask_b32_e32 v14, v23, v14, vcc_lo
	v_cmp_gt_i32_e32 vcc_lo, 1, v17
	v_lshrrev_b32_e32 v12, 2, v12
	v_cmp_lt_i32_e64 s1, 5, v19
	v_and_b32_e32 v20, 7, v14
	v_cndmask_b32_e32 v16, v25, v16, vcc_lo
	v_cmp_lt_i32_e32 vcc_lo, 5, v18
	v_cmp_eq_u32_e64 s2, 3, v19
	v_lshrrev_b32_e32 v14, 2, v14
	v_cmp_lt_i32_e64 s3, 5, v20
	v_and_b32_e32 v21, 7, v16
	s_or_b32 vcc_lo, s0, vcc_lo
	v_cmp_eq_u32_e64 s4, 3, v20
	v_add_co_ci_u32_e32 v10, vcc_lo, 0, v10, vcc_lo
	s_or_b32 vcc_lo, s2, s1
	v_cmp_lt_i32_e64 s5, 5, v21
	v_cmp_eq_u32_e64 s6, 3, v21
	v_add_co_ci_u32_e32 v12, vcc_lo, 0, v12, vcc_lo
	v_lshrrev_b32_e32 v16, 2, v16
	s_or_b32 vcc_lo, s4, s3
	v_add_co_ci_u32_e32 v14, vcc_lo, 0, v14, vcc_lo
	s_or_b32 vcc_lo, s6, s5
	v_add_co_ci_u32_e32 v16, vcc_lo, 0, v16, vcc_lo
	v_cmp_gt_i32_e32 vcc_lo, 31, v11
	v_cndmask_b32_e32 v10, 0x7c00, v10, vcc_lo
	v_cmp_gt_i32_e32 vcc_lo, 31, v13
	v_cndmask_b32_e32 v12, 0x7c00, v12, vcc_lo
	;; [unrolled: 2-line block ×4, first 2 shown]
	v_cmp_eq_u32_e32 vcc_lo, 0x40f, v11
	v_cndmask_b32_e32 v2, v10, v2, vcc_lo
	v_cmp_eq_u32_e32 vcc_lo, 0x40f, v15
	v_and_or_b32 v2, 0x8000, v3, v2
	v_cndmask_b32_e32 v6, v14, v6, vcc_lo
	v_cmp_eq_u32_e32 vcc_lo, 0x40f, v13
	v_and_or_b32 v3, 0x8000, v7, v6
	v_cndmask_b32_e32 v4, v12, v4, vcc_lo
	v_cmp_eq_u32_e32 vcc_lo, 0x40f, v17
	v_and_b32_e32 v6, 0xffff, v2
	v_and_b32_e32 v7, 0xffff, v3
	v_and_or_b32 v4, 0x8000, v5, v4
	v_cndmask_b32_e32 v8, v16, v8, vcc_lo
	v_add_co_u32 v0, vcc_lo, v0, s8
	v_add_co_ci_u32_e32 v1, vcc_lo, s9, v1, vcc_lo
	v_and_or_b32 v5, 0x8000, v9, v8
	v_add_co_u32 v2, vcc_lo, v0, s10
	v_lshl_or_b32 v4, v4, 16, v6
	v_add_co_ci_u32_e32 v3, vcc_lo, s11, v1, vcc_lo
	v_lshl_or_b32 v5, v5, 16, v7
	global_store_dword v[0:1], v4, off
	global_store_dword v[2:3], v5, off
.LBB0_23:
	s_endpgm
	.section	.rodata,"a",@progbits
	.p2align	6, 0x0
	.amdhsa_kernel bluestein_single_fwd_len1210_dim1_half_op_CI_CI
		.amdhsa_group_segment_fixed_size 4840
		.amdhsa_private_segment_fixed_size 0
		.amdhsa_kernarg_size 104
		.amdhsa_user_sgpr_count 6
		.amdhsa_user_sgpr_private_segment_buffer 1
		.amdhsa_user_sgpr_dispatch_ptr 0
		.amdhsa_user_sgpr_queue_ptr 0
		.amdhsa_user_sgpr_kernarg_segment_ptr 1
		.amdhsa_user_sgpr_dispatch_id 0
		.amdhsa_user_sgpr_flat_scratch_init 0
		.amdhsa_user_sgpr_private_segment_size 0
		.amdhsa_wavefront_size32 1
		.amdhsa_uses_dynamic_stack 0
		.amdhsa_system_sgpr_private_segment_wavefront_offset 0
		.amdhsa_system_sgpr_workgroup_id_x 1
		.amdhsa_system_sgpr_workgroup_id_y 0
		.amdhsa_system_sgpr_workgroup_id_z 0
		.amdhsa_system_sgpr_workgroup_info 0
		.amdhsa_system_vgpr_workitem_id 0
		.amdhsa_next_free_vgpr 183
		.amdhsa_next_free_sgpr 16
		.amdhsa_reserve_vcc 1
		.amdhsa_reserve_flat_scratch 0
		.amdhsa_float_round_mode_32 0
		.amdhsa_float_round_mode_16_64 0
		.amdhsa_float_denorm_mode_32 3
		.amdhsa_float_denorm_mode_16_64 3
		.amdhsa_dx10_clamp 1
		.amdhsa_ieee_mode 1
		.amdhsa_fp16_overflow 0
		.amdhsa_workgroup_processor_mode 1
		.amdhsa_memory_ordered 1
		.amdhsa_forward_progress 0
		.amdhsa_shared_vgpr_count 0
		.amdhsa_exception_fp_ieee_invalid_op 0
		.amdhsa_exception_fp_denorm_src 0
		.amdhsa_exception_fp_ieee_div_zero 0
		.amdhsa_exception_fp_ieee_overflow 0
		.amdhsa_exception_fp_ieee_underflow 0
		.amdhsa_exception_fp_ieee_inexact 0
		.amdhsa_exception_int_div_zero 0
	.end_amdhsa_kernel
	.text
.Lfunc_end0:
	.size	bluestein_single_fwd_len1210_dim1_half_op_CI_CI, .Lfunc_end0-bluestein_single_fwd_len1210_dim1_half_op_CI_CI
                                        ; -- End function
	.section	.AMDGPU.csdata,"",@progbits
; Kernel info:
; codeLenInByte = 24312
; NumSgprs: 18
; NumVgprs: 183
; ScratchSize: 0
; MemoryBound: 0
; FloatMode: 240
; IeeeMode: 1
; LDSByteSize: 4840 bytes/workgroup (compile time only)
; SGPRBlocks: 2
; VGPRBlocks: 22
; NumSGPRsForWavesPerEU: 18
; NumVGPRsForWavesPerEU: 183
; Occupancy: 5
; WaveLimiterHint : 1
; COMPUTE_PGM_RSRC2:SCRATCH_EN: 0
; COMPUTE_PGM_RSRC2:USER_SGPR: 6
; COMPUTE_PGM_RSRC2:TRAP_HANDLER: 0
; COMPUTE_PGM_RSRC2:TGID_X_EN: 1
; COMPUTE_PGM_RSRC2:TGID_Y_EN: 0
; COMPUTE_PGM_RSRC2:TGID_Z_EN: 0
; COMPUTE_PGM_RSRC2:TIDIG_COMP_CNT: 0
	.text
	.p2alignl 6, 3214868480
	.fill 48, 4, 3214868480
	.type	__hip_cuid_bdf295398c5a14d4,@object ; @__hip_cuid_bdf295398c5a14d4
	.section	.bss,"aw",@nobits
	.globl	__hip_cuid_bdf295398c5a14d4
__hip_cuid_bdf295398c5a14d4:
	.byte	0                               ; 0x0
	.size	__hip_cuid_bdf295398c5a14d4, 1

	.ident	"AMD clang version 19.0.0git (https://github.com/RadeonOpenCompute/llvm-project roc-6.4.0 25133 c7fe45cf4b819c5991fe208aaa96edf142730f1d)"
	.section	".note.GNU-stack","",@progbits
	.addrsig
	.addrsig_sym __hip_cuid_bdf295398c5a14d4
	.amdgpu_metadata
---
amdhsa.kernels:
  - .args:
      - .actual_access:  read_only
        .address_space:  global
        .offset:         0
        .size:           8
        .value_kind:     global_buffer
      - .actual_access:  read_only
        .address_space:  global
        .offset:         8
        .size:           8
        .value_kind:     global_buffer
      - .actual_access:  read_only
        .address_space:  global
        .offset:         16
        .size:           8
        .value_kind:     global_buffer
      - .actual_access:  read_only
        .address_space:  global
        .offset:         24
        .size:           8
        .value_kind:     global_buffer
      - .actual_access:  read_only
        .address_space:  global
        .offset:         32
        .size:           8
        .value_kind:     global_buffer
      - .offset:         40
        .size:           8
        .value_kind:     by_value
      - .address_space:  global
        .offset:         48
        .size:           8
        .value_kind:     global_buffer
      - .address_space:  global
        .offset:         56
        .size:           8
        .value_kind:     global_buffer
      - .address_space:  global
        .offset:         64
        .size:           8
        .value_kind:     global_buffer
      - .address_space:  global
        .offset:         72
        .size:           8
        .value_kind:     global_buffer
      - .offset:         80
        .size:           4
        .value_kind:     by_value
      - .address_space:  global
        .offset:         88
        .size:           8
        .value_kind:     global_buffer
      - .address_space:  global
        .offset:         96
        .size:           8
        .value_kind:     global_buffer
    .group_segment_fixed_size: 4840
    .kernarg_segment_align: 8
    .kernarg_segment_size: 104
    .language:       OpenCL C
    .language_version:
      - 2
      - 0
    .max_flat_workgroup_size: 110
    .name:           bluestein_single_fwd_len1210_dim1_half_op_CI_CI
    .private_segment_fixed_size: 0
    .sgpr_count:     18
    .sgpr_spill_count: 0
    .symbol:         bluestein_single_fwd_len1210_dim1_half_op_CI_CI.kd
    .uniform_work_group_size: 1
    .uses_dynamic_stack: false
    .vgpr_count:     183
    .vgpr_spill_count: 0
    .wavefront_size: 32
    .workgroup_processor_mode: 1
amdhsa.target:   amdgcn-amd-amdhsa--gfx1030
amdhsa.version:
  - 1
  - 2
...

	.end_amdgpu_metadata
